;; amdgpu-corpus repo=ROCm/rocFFT kind=compiled arch=gfx1100 opt=O3
	.text
	.amdgcn_target "amdgcn-amd-amdhsa--gfx1100"
	.amdhsa_code_object_version 6
	.protected	bluestein_single_fwd_len1080_dim1_sp_op_CI_CI ; -- Begin function bluestein_single_fwd_len1080_dim1_sp_op_CI_CI
	.globl	bluestein_single_fwd_len1080_dim1_sp_op_CI_CI
	.p2align	8
	.type	bluestein_single_fwd_len1080_dim1_sp_op_CI_CI,@function
bluestein_single_fwd_len1080_dim1_sp_op_CI_CI: ; @bluestein_single_fwd_len1080_dim1_sp_op_CI_CI
; %bb.0:
	s_load_b128 s[16:19], s[0:1], 0x28
	v_mul_u32_u24_e32 v1, 0x25f, v0
	v_mov_b32_e32 v69, 0
	s_mov_b32 s2, exec_lo
	s_delay_alu instid0(VALU_DEP_2) | instskip(NEXT) | instid1(VALU_DEP_1)
	v_lshrrev_b32_e32 v2, 16, v1
	v_lshl_add_u32 v68, s15, 1, v2
	s_waitcnt lgkmcnt(0)
	s_delay_alu instid0(VALU_DEP_1)
	v_cmpx_gt_u64_e64 s[16:17], v[68:69]
	s_cbranch_execz .LBB0_31
; %bb.1:
	s_clause 0x1
	s_load_b128 s[4:7], s[0:1], 0x18
	s_load_b64 s[2:3], s[0:1], 0x0
	v_mul_lo_u16 v1, 0x6c, v2
	s_delay_alu instid0(VALU_DEP_1) | instskip(SKIP_4) | instid1(VALU_DEP_1)
	v_sub_nc_u16 v21, v0, v1
	s_waitcnt lgkmcnt(0)
	s_load_b128 s[8:11], s[4:5], 0x0
	s_waitcnt lgkmcnt(0)
	v_mad_u64_u32 v[0:1], null, s10, v68, 0
	v_mad_u64_u32 v[5:6], null, s11, v68, v[1:2]
	v_and_b32_e32 v96, 0xffff, v21
	s_load_b64 s[10:11], s[0:1], 0x38
	s_delay_alu instid0(VALU_DEP_2) | instskip(NEXT) | instid1(VALU_DEP_2)
	v_mov_b32_e32 v1, v5
	v_mad_u64_u32 v[3:4], null, s8, v96, 0
	s_delay_alu instid0(VALU_DEP_2) | instskip(NEXT) | instid1(VALU_DEP_2)
	v_lshlrev_b64 v[0:1], 3, v[0:1]
	v_mad_u64_u32 v[6:7], null, s9, v96, v[4:5]
	s_delay_alu instid0(VALU_DEP_1) | instskip(NEXT) | instid1(VALU_DEP_1)
	v_dual_mov_b32 v4, v6 :: v_dual_lshlrev_b32 v103, 3, v96
	v_add_co_u32 v66, s4, s2, v103
	s_delay_alu instid0(VALU_DEP_1) | instskip(NEXT) | instid1(VALU_DEP_3)
	v_add_co_ci_u32_e64 v67, null, s3, 0, s4
	v_lshlrev_b64 v[3:4], 3, v[3:4]
	s_delay_alu instid0(VALU_DEP_3) | instskip(NEXT) | instid1(VALU_DEP_3)
	v_add_co_u32 v64, vcc_lo, 0x1000, v66
	v_add_co_ci_u32_e32 v65, vcc_lo, 0, v67, vcc_lo
	v_add_co_u32 v0, vcc_lo, s18, v0
	v_add_co_ci_u32_e32 v1, vcc_lo, s19, v1, vcc_lo
	s_clause 0x2
	global_load_b64 v[71:72], v103, s[2:3]
	global_load_b64 v[73:74], v103, s[2:3] offset:1440
	global_load_b64 v[69:70], v103, s[2:3] offset:2880
	v_add_co_u32 v0, vcc_lo, v0, v3
	v_add_co_ci_u32_e32 v1, vcc_lo, v1, v4, vcc_lo
	s_mul_i32 s3, s9, 0xb4
	s_mul_hi_u32 s4, s8, 0xb4
	s_mul_i32 s2, s8, 0xb4
	s_add_i32 s3, s4, s3
	global_load_b64 v[7:8], v[0:1], off
	s_lshl_b64 s[12:13], s[2:3], 3
	global_load_b64 v[75:76], v[64:65], off offset:224
	v_add_co_u32 v3, vcc_lo, v0, s12
	v_add_co_ci_u32_e32 v4, vcc_lo, s13, v1, vcc_lo
	v_and_b32_e32 v2, 1, v2
	s_delay_alu instid0(VALU_DEP_3) | instskip(NEXT) | instid1(VALU_DEP_3)
	v_add_co_u32 v5, vcc_lo, v3, s12
	v_add_co_ci_u32_e32 v6, vcc_lo, s13, v4, vcc_lo
	s_delay_alu instid0(VALU_DEP_2) | instskip(NEXT) | instid1(VALU_DEP_2)
	v_add_co_u32 v0, vcc_lo, v5, s12
	v_add_co_ci_u32_e32 v1, vcc_lo, s13, v6, vcc_lo
	s_clause 0x1
	global_load_b64 v[3:4], v[3:4], off
	global_load_b64 v[5:6], v[5:6], off
	v_add_co_u32 v9, vcc_lo, v0, s12
	v_add_co_ci_u32_e32 v10, vcc_lo, s13, v1, vcc_lo
	global_load_b64 v[11:12], v[0:1], off
	v_add_co_u32 v0, vcc_lo, v9, s12
	v_add_co_ci_u32_e32 v1, vcc_lo, s13, v10, vcc_lo
	global_load_b64 v[9:10], v[9:10], off
	s_clause 0x1
	global_load_b64 v[77:78], v[64:65], off offset:1664
	global_load_b64 v[79:80], v[64:65], off offset:3104
	global_load_b64 v[13:14], v[0:1], off
	s_load_b128 s[4:7], s[6:7], 0x0
	s_waitcnt vmcnt(8)
	v_mul_f32_e32 v15, v8, v72
	v_cmp_eq_u32_e32 vcc_lo, 1, v2
	v_mul_f32_e32 v16, v7, v72
	s_delay_alu instid0(VALU_DEP_3) | instskip(SKIP_2) | instid1(VALU_DEP_4)
	v_fmac_f32_e32 v15, v7, v71
	v_cndmask_b32_e64 v105, 0, 0x438, vcc_lo
	v_cmp_gt_u16_e32 vcc_lo, 0x48, v21
	v_fma_f32 v16, v8, v71, -v16
	s_delay_alu instid0(VALU_DEP_3) | instskip(SKIP_1) | instid1(VALU_DEP_1)
	v_lshlrev_b32_e32 v97, 3, v105
	s_waitcnt vmcnt(6)
	v_dual_mul_f32 v8, v3, v74 :: v_dual_add_nc_u32 v95, v97, v103
	v_mul_f32_e32 v7, v4, v74
	s_waitcnt vmcnt(5)
	v_mul_f32_e32 v17, v6, v70
	v_mul_f32_e32 v18, v5, v70
	v_add_nc_u32_e32 v2, 0xa00, v95
	v_fma_f32 v8, v4, v73, -v8
	v_fmac_f32_e32 v7, v3, v73
	s_waitcnt vmcnt(2)
	v_dual_mul_f32 v3, v11, v76 :: v_dual_mul_f32 v4, v10, v78
	v_mul_f32_e32 v19, v12, v76
	v_fma_f32 v18, v6, v69, -v18
	s_waitcnt vmcnt(0)
	v_mul_f32_e32 v6, v13, v80
	v_fmac_f32_e32 v17, v5, v69
	v_dual_fmac_f32 v4, v9, v77 :: v_dual_fmac_f32 v19, v11, v75
	v_mul_f32_e32 v5, v9, v78
	v_mul_f32_e32 v11, v14, v80
	v_fma_f32 v20, v12, v75, -v3
	v_add_nc_u32_e32 v3, 0x1600, v95
	v_fma_f32 v12, v14, v79, -v6
	v_fma_f32 v5, v10, v77, -v5
	v_fmac_f32_e32 v11, v13, v79
	ds_store_2addr_b64 v95, v[15:16], v[7:8] offset1:180
	ds_store_2addr_b64 v2, v[17:18], v[19:20] offset0:40 offset1:220
	ds_store_2addr_b64 v3, v[4:5], v[11:12] offset0:16 offset1:196
	s_and_saveexec_b32 s3, vcc_lo
	s_cbranch_execz .LBB0_3
; %bb.2:
	v_mad_u64_u32 v[4:5], null, 0xffffe740, s8, v[0:1]
	s_mul_i32 s2, s9, 0xffffe740
	s_clause 0x2
	global_load_b64 v[0:1], v[66:67], off offset:864
	global_load_b64 v[6:7], v[66:67], off offset:2304
	;; [unrolled: 1-line block ×3, first 2 shown]
	s_sub_i32 s2, s2, s8
	global_load_b64 v[10:11], v[64:65], off offset:1088
	v_add_nc_u32_e32 v28, 0x200, v95
	v_add_nc_u32_e32 v29, 0xe00, v95
	;; [unrolled: 1-line block ×3, first 2 shown]
	v_add_co_u32 v12, s2, v4, s12
	s_delay_alu instid0(VALU_DEP_1) | instskip(NEXT) | instid1(VALU_DEP_2)
	v_add_co_ci_u32_e64 v13, s2, s13, v5, s2
	v_add_co_u32 v14, s2, v12, s12
	global_load_b64 v[4:5], v[4:5], off
	v_add_co_ci_u32_e64 v15, s2, s13, v13, s2
	v_add_co_u32 v16, s2, v14, s12
	global_load_b64 v[12:13], v[12:13], off
	;; [unrolled: 3-line block ×4, first 2 shown]
	v_add_co_ci_u32_e64 v21, s2, s13, v19, s2
	global_load_b64 v[18:19], v[18:19], off
	s_clause 0x1
	global_load_b64 v[22:23], v[64:65], off offset:2528
	global_load_b64 v[24:25], v[64:65], off offset:3968
	global_load_b64 v[20:21], v[20:21], off
	s_waitcnt vmcnt(7)
	v_mul_f32_e32 v26, v5, v1
	v_mul_f32_e32 v1, v4, v1
	s_delay_alu instid0(VALU_DEP_2) | instskip(SKIP_2) | instid1(VALU_DEP_3)
	v_fmac_f32_e32 v26, v4, v0
	s_waitcnt vmcnt(6)
	v_mul_f32_e32 v4, v13, v7
	v_fma_f32 v27, v5, v0, -v1
	s_waitcnt vmcnt(5)
	v_dual_mul_f32 v1, v12, v7 :: v_dual_mul_f32 v0, v15, v9
	s_delay_alu instid0(VALU_DEP_3) | instskip(NEXT) | instid1(VALU_DEP_2)
	v_dual_mul_f32 v9, v14, v9 :: v_dual_fmac_f32 v4, v12, v6
	v_fma_f32 v5, v13, v6, -v1
	s_waitcnt vmcnt(4)
	v_mul_f32_e32 v7, v17, v11
	v_mul_f32_e32 v6, v16, v11
	v_fma_f32 v1, v15, v8, -v9
	s_waitcnt vmcnt(0)
	v_mul_f32_e32 v11, v21, v25
	v_mul_f32_e32 v9, v19, v23
	v_dual_mul_f32 v12, v18, v23 :: v_dual_mul_f32 v13, v20, v25
	v_dual_fmac_f32 v0, v14, v8 :: v_dual_fmac_f32 v7, v16, v10
	v_fma_f32 v8, v17, v10, -v6
	s_delay_alu instid0(VALU_DEP_4) | instskip(NEXT) | instid1(VALU_DEP_4)
	v_dual_fmac_f32 v9, v18, v22 :: v_dual_add_nc_u32 v6, 0x1800, v95
	v_fma_f32 v10, v19, v22, -v12
	v_fmac_f32_e32 v11, v20, v24
	v_fma_f32 v12, v21, v24, -v13
	ds_store_2addr_b64 v28, v[26:27], v[4:5] offset0:44 offset1:224
	ds_store_2addr_b64 v29, v[0:1], v[7:8] offset0:20 offset1:200
	;; [unrolled: 1-line block ×3, first 2 shown]
.LBB0_3:
	s_or_b32 exec_lo, exec_lo, s3
	s_waitcnt lgkmcnt(0)
	s_barrier
	buffer_gl0_inv
	ds_load_2addr_b64 v[12:15], v95 offset1:180
	ds_load_2addr_b64 v[20:23], v2 offset0:40 offset1:220
	ds_load_2addr_b64 v[16:19], v3 offset0:16 offset1:196
                                        ; implicit-def: $vgpr0
                                        ; implicit-def: $vgpr4
                                        ; implicit-def: $vgpr8
	s_and_saveexec_b32 s2, vcc_lo
	s_cbranch_execz .LBB0_5
; %bb.4:
	v_add_nc_u32_e32 v0, 0x200, v95
	v_add_nc_u32_e32 v4, 0xe00, v95
	;; [unrolled: 1-line block ×3, first 2 shown]
	ds_load_2addr_b64 v[0:3], v0 offset0:44 offset1:224
	ds_load_2addr_b64 v[4:7], v4 offset0:20 offset1:200
	;; [unrolled: 1-line block ×3, first 2 shown]
.LBB0_5:
	s_or_b32 exec_lo, exec_lo, s2
	s_waitcnt lgkmcnt(0)
	v_dual_add_f32 v25, v12, v20 :: v_dual_sub_f32 v26, v21, v17
	v_add_f32_e32 v24, v20, v16
	s_load_b64 s[2:3], s[0:1], 0x8
	v_add_co_u32 v106, null, 0x6c, v96
	s_delay_alu instid0(VALU_DEP_3) | instskip(NEXT) | instid1(VALU_DEP_3)
	v_add_f32_e32 v30, v25, v16
	v_fma_f32 v12, -0.5, v24, v12
	v_dual_add_f32 v24, v21, v17 :: v_dual_add_f32 v25, v22, v18
	v_dual_add_f32 v21, v13, v21 :: v_dual_sub_f32 v16, v20, v16
	s_delay_alu instid0(VALU_DEP_3) | instskip(SKIP_1) | instid1(VALU_DEP_4)
	v_fmamk_f32 v31, v26, 0x3f5db3d7, v12
	v_fmac_f32_e32 v12, 0xbf5db3d7, v26
	v_fma_f32 v13, -0.5, v24, v13
	s_delay_alu instid0(VALU_DEP_4) | instskip(SKIP_3) | instid1(VALU_DEP_4)
	v_dual_add_f32 v24, v23, v19 :: v_dual_add_f32 v17, v21, v17
	v_fma_f32 v20, -0.5, v25, v14
	v_sub_f32_e32 v25, v23, v19
	v_add_f32_e32 v23, v15, v23
	v_dual_fmac_f32 v15, -0.5, v24 :: v_dual_sub_f32 v24, v22, v18
	v_dual_fmamk_f32 v21, v16, 0xbf5db3d7, v13 :: v_dual_add_f32 v14, v14, v22
	s_delay_alu instid0(VALU_DEP_4) | instskip(NEXT) | instid1(VALU_DEP_3)
	v_dual_fmamk_f32 v22, v25, 0x3f5db3d7, v20 :: v_dual_fmac_f32 v13, 0x3f5db3d7, v16
	v_dual_fmamk_f32 v26, v24, 0xbf5db3d7, v15 :: v_dual_add_f32 v19, v23, v19
	s_delay_alu instid0(VALU_DEP_2) | instskip(NEXT) | instid1(VALU_DEP_4)
	v_dual_fmac_f32 v20, 0xbf5db3d7, v25 :: v_dual_mul_f32 v23, 0xbf5db3d7, v22
	v_dual_add_f32 v14, v14, v18 :: v_dual_fmac_f32 v15, 0x3f5db3d7, v24
	s_delay_alu instid0(VALU_DEP_3) | instskip(NEXT) | instid1(VALU_DEP_3)
	v_mul_f32_e32 v16, 0x3f5db3d7, v26
	v_dual_mul_f32 v18, -0.5, v20 :: v_dual_fmac_f32 v23, 0.5, v26
	s_delay_alu instid0(VALU_DEP_3) | instskip(NEXT) | instid1(VALU_DEP_3)
	v_dual_add_f32 v24, v30, v14 :: v_dual_add_f32 v25, v17, v19
	v_dual_mul_f32 v35, -0.5, v15 :: v_dual_fmac_f32 v16, 0.5, v22
	s_delay_alu instid0(VALU_DEP_3) | instskip(NEXT) | instid1(VALU_DEP_2)
	v_dual_fmac_f32 v18, 0x3f5db3d7, v15 :: v_dual_add_f32 v15, v4, v8
	v_dual_sub_f32 v30, v30, v14 :: v_dual_fmac_f32 v35, 0xbf5db3d7, v20
	s_delay_alu instid0(VALU_DEP_3) | instskip(NEXT) | instid1(VALU_DEP_3)
	v_dual_add_f32 v26, v31, v16 :: v_dual_add_f32 v27, v21, v23
	v_add_f32_e32 v28, v12, v18
	v_sub_f32_e32 v32, v31, v16
	v_dual_sub_f32 v34, v12, v18 :: v_dual_sub_f32 v33, v21, v23
	v_fma_f32 v12, -0.5, v15, v0
	v_dual_sub_f32 v15, v5, v9 :: v_dual_add_f32 v14, v6, v10
	v_add_f32_e32 v16, v7, v11
	v_add_f32_e32 v29, v13, v35
	v_sub_f32_e32 v31, v17, v19
	v_add_f32_e32 v17, v5, v9
	v_sub_f32_e32 v35, v13, v35
	v_dual_fmamk_f32 v13, v15, 0x3f5db3d7, v12 :: v_dual_sub_f32 v20, v6, v10
	v_fma_f32 v18, -0.5, v14, v2
	v_fma_f32 v16, -0.5, v16, v3
	v_sub_f32_e32 v19, v7, v11
	v_fma_f32 v14, -0.5, v17, v1
	v_dual_sub_f32 v17, v4, v8 :: v_dual_fmac_f32 v12, 0xbf5db3d7, v15
	s_delay_alu instid0(VALU_DEP_4)
	v_fmamk_f32 v37, v20, 0xbf5db3d7, v16
	v_fmac_f32_e32 v16, 0x3f5db3d7, v20
	v_fmamk_f32 v36, v19, 0x3f5db3d7, v18
	v_fmac_f32_e32 v18, 0xbf5db3d7, v19
	v_mul_u32_u24_e32 v101, 6, v106
	s_waitcnt lgkmcnt(0)
	v_mul_f32_e32 v23, -0.5, v16
	s_barrier
	v_dual_mul_f32 v21, -0.5, v18 :: v_dual_mul_f32 v22, 0xbf5db3d7, v36
	v_mul_f32_e32 v20, 0x3f5db3d7, v37
	s_delay_alu instid0(VALU_DEP_3)
	v_fmac_f32_e32 v23, 0xbf5db3d7, v18
	buffer_gl0_inv
	v_fmac_f32_e32 v21, 0x3f5db3d7, v16
	v_fmamk_f32 v15, v17, 0xbf5db3d7, v14
	v_fmac_f32_e32 v20, 0.5, v36
	v_fmac_f32_e32 v22, 0.5, v37
	s_delay_alu instid0(VALU_DEP_4) | instskip(SKIP_3) | instid1(VALU_DEP_2)
	v_sub_f32_e32 v18, v12, v21
	v_fmac_f32_e32 v14, 0x3f5db3d7, v17
	v_mul_lo_u16 v17, v96, 6
	v_sub_f32_e32 v16, v13, v20
	v_dual_sub_f32 v17, v15, v22 :: v_dual_and_b32 v36, 0xffff, v17
	s_delay_alu instid0(VALU_DEP_4) | instskip(NEXT) | instid1(VALU_DEP_2)
	v_sub_f32_e32 v19, v14, v23
	v_lshl_add_u32 v102, v36, 3, v97
	ds_store_b128 v102, v[24:27]
	ds_store_b128 v102, v[28:31] offset:16
	ds_store_b128 v102, v[32:35] offset:32
	s_and_saveexec_b32 s0, vcc_lo
	s_cbranch_execz .LBB0_7
; %bb.6:
	v_dual_add_f32 v1, v1, v5 :: v_dual_add_f32 v0, v0, v4
	v_dual_add_f32 v3, v3, v7 :: v_dual_add_f32 v2, v2, v6
	s_delay_alu instid0(VALU_DEP_2) | instskip(NEXT) | instid1(VALU_DEP_3)
	v_dual_add_f32 v7, v15, v22 :: v_dual_add_f32 v4, v1, v9
	v_dual_add_f32 v0, v0, v8 :: v_dual_add_f32 v1, v14, v23
	s_delay_alu instid0(VALU_DEP_3) | instskip(NEXT) | instid1(VALU_DEP_1)
	v_dual_add_f32 v5, v3, v11 :: v_dual_add_f32 v8, v2, v10
	v_dual_add_f32 v6, v13, v20 :: v_dual_sub_f32 v3, v4, v5
	s_delay_alu instid0(VALU_DEP_2)
	v_sub_f32_e32 v2, v0, v8
	v_add_f32_e32 v5, v4, v5
	v_add_f32_e32 v4, v0, v8
	v_lshl_add_u32 v8, v101, 3, v97
	v_add_f32_e32 v0, v12, v21
	ds_store_b128 v8, v[4:7]
	ds_store_b128 v8, v[0:3] offset:16
	ds_store_b128 v8, v[16:19] offset:32
.LBB0_7:
	s_or_b32 exec_lo, exec_lo, s0
	v_and_b32_e32 v0, 0xff, v96
	s_waitcnt lgkmcnt(0)
	s_barrier
	buffer_gl0_inv
	v_mul_lo_u16 v0, 0xab, v0
	s_delay_alu instid0(VALU_DEP_1) | instskip(NEXT) | instid1(VALU_DEP_1)
	v_lshrrev_b16 v25, 10, v0
	v_mul_lo_u16 v0, v25, 6
	s_delay_alu instid0(VALU_DEP_1) | instskip(NEXT) | instid1(VALU_DEP_1)
	v_sub_nc_u16 v0, v96, v0
	v_and_b32_e32 v37, 0xff, v0
	s_delay_alu instid0(VALU_DEP_1)
	v_mad_u64_u32 v[20:21], null, 0x48, v37, s[2:3]
	s_clause 0x4
	global_load_b128 v[12:15], v[20:21], off
	global_load_b128 v[8:11], v[20:21], off offset:16
	global_load_b128 v[4:7], v[20:21], off offset:32
	;; [unrolled: 1-line block ×3, first 2 shown]
	global_load_b64 v[81:82], v[20:21], off offset:64
	v_add_nc_u32_e32 v20, 0x400, v95
	v_and_b32_e32 v33, 0xffff, v25
	ds_load_2addr_b64 v[21:24], v95 offset1:108
	ds_load_2addr_b64 v[25:28], v20 offset0:88 offset1:196
	v_add_nc_u32_e32 v29, 0xc00, v95
	s_waitcnt vmcnt(4) lgkmcnt(0)
	v_mul_f32_e32 v44, v25, v15
	s_waitcnt vmcnt(3)
	v_mul_f32_e32 v46, v27, v9
	ds_load_2addr_b64 v[29:32], v29 offset0:48 offset1:156
	v_add_nc_u32_e32 v34, 0x1000, v95
	v_mul_u32_u24_e32 v38, 60, v33
	v_mul_f32_e32 v42, v23, v13
	v_mul_f32_e32 v45, v28, v9
	v_dual_fmac_f32 v46, v28, v8 :: v_dual_add_nc_u32 v49, 0x1600, v95
	s_delay_alu instid0(VALU_DEP_3) | instskip(SKIP_1) | instid1(VALU_DEP_1)
	v_dual_fmac_f32 v42, v24, v12 :: v_dual_add_nc_u32 v41, v38, v37
	s_waitcnt lgkmcnt(0)
	v_dual_add_f32 v87, v42, v46 :: v_dual_mul_f32 v50, v29, v11
	s_waitcnt vmcnt(2)
	v_mul_f32_e32 v51, v32, v5
	ds_load_2addr_b64 v[33:36], v34 offset0:136 offset1:244
	v_add_nc_u32_e32 v20, 0x1800, v95
	v_lshl_add_u32 v100, v41, 3, v97
	v_mul_f32_e32 v41, v24, v13
	v_mul_f32_e32 v43, v26, v15
	v_fma_f32 v24, v27, v8, -v45
	v_mul_f32_e32 v52, v31, v5
	s_delay_alu instid0(VALU_DEP_4)
	v_fma_f32 v41, v23, v12, -v41
	s_waitcnt vmcnt(1) lgkmcnt(0)
	v_mul_f32_e32 v56, v35, v1
	v_mul_f32_e32 v55, v36, v1
	ds_load_2addr_b64 v[37:40], v20 offset0:96 offset1:204
	v_mul_f32_e32 v47, v30, v11
	v_mul_f32_e32 v53, v34, v7
	v_fma_f32 v23, v25, v14, -v43
	v_fmac_f32_e32 v44, v26, v14
	v_fma_f32 v26, v31, v4, -v51
	v_fma_f32 v28, v35, v0, -v55
	;; [unrolled: 1-line block ×3, first 2 shown]
	v_add_f32_e32 v31, v21, v23
	s_delay_alu instid0(VALU_DEP_4)
	v_dual_sub_f32 v63, v24, v26 :: v_dual_add_nc_u32 v48, 0xa00, v95
	s_waitcnt vmcnt(0) lgkmcnt(0)
	s_barrier
	buffer_gl0_inv
	v_mul_f32_e32 v59, v40, v82
	v_dual_mul_f32 v57, v38, v3 :: v_dual_mul_f32 v60, v39, v82
	v_fma_f32 v25, v29, v10, -v47
	v_mul_f32_e32 v58, v37, v3
	s_delay_alu instid0(VALU_DEP_3) | instskip(NEXT) | instid1(VALU_DEP_3)
	v_fma_f32 v29, v37, v2, -v57
	v_dual_fmac_f32 v50, v30, v10 :: v_dual_sub_f32 v35, v23, v25
	s_delay_alu instid0(VALU_DEP_3) | instskip(SKIP_1) | instid1(VALU_DEP_4)
	v_dual_fmac_f32 v58, v38, v2 :: v_dual_sub_f32 v45, v25, v27
	v_mul_f32_e32 v54, v33, v7
	v_dual_fmac_f32 v52, v32, v4 :: v_dual_add_f32 v37, v23, v29
	s_delay_alu instid0(VALU_DEP_4) | instskip(NEXT) | instid1(VALU_DEP_4)
	v_dual_add_f32 v32, v25, v27 :: v_dual_sub_f32 v47, v44, v50
	v_sub_f32_e32 v33, v44, v58
	s_delay_alu instid0(VALU_DEP_4)
	v_fmac_f32_e32 v54, v34, v6
	v_dual_sub_f32 v38, v25, v23 :: v_dual_sub_f32 v23, v23, v29
	v_fmac_f32_e32 v56, v36, v0
	v_dual_sub_f32 v36, v29, v27 :: v_dual_add_f32 v53, v44, v58
	v_fma_f32 v30, v39, v81, -v59
	v_dual_fmac_f32 v60, v40, v81 :: v_dual_sub_f32 v51, v58, v54
	v_dual_sub_f32 v34, v50, v54 :: v_dual_add_f32 v57, v41, v24
	v_dual_sub_f32 v39, v27, v29 :: v_dual_add_f32 v40, v22, v44
	v_add_f32_e32 v43, v50, v54
	v_dual_sub_f32 v44, v50, v44 :: v_dual_add_f32 v25, v31, v25
	v_dual_sub_f32 v55, v54, v58 :: v_dual_sub_f32 v62, v52, v56
	v_add_f32_e32 v88, v52, v56
	v_fma_f32 v94, -0.5, v32, v21
	v_add_f32_e32 v31, v35, v36
	v_fma_f32 v35, -0.5, v37, v21
	v_dual_add_f32 v59, v26, v28 :: v_dual_add_f32 v84, v24, v30
	v_dual_sub_f32 v61, v46, v60 :: v_dual_sub_f32 v86, v28, v30
	v_sub_f32_e32 v83, v30, v28
	v_dual_sub_f32 v85, v26, v24 :: v_dual_sub_f32 v24, v24, v30
	v_dual_sub_f32 v89, v26, v28 :: v_dual_add_f32 v32, v40, v50
	v_sub_f32_e32 v90, v46, v52
	v_dual_sub_f32 v91, v60, v56 :: v_dual_add_f32 v36, v47, v51
	v_dual_add_f32 v92, v46, v60 :: v_dual_add_f32 v25, v25, v27
	v_dual_sub_f32 v46, v52, v46 :: v_dual_add_f32 v21, v38, v39
	v_fma_f32 v43, -0.5, v43, v22
	v_fma_f32 v47, -0.5, v53, v22
	v_add_f32_e32 v22, v44, v55
	v_dual_add_f32 v40, v87, v52 :: v_dual_fmamk_f32 v51, v33, 0x3f737871, v94
	v_fma_f32 v44, -0.5, v88, v42
	v_dual_fmamk_f32 v52, v34, 0xbf737871, v35 :: v_dual_sub_f32 v93, v56, v60
	v_add_f32_e32 v26, v57, v26
	v_fma_f32 v37, -0.5, v59, v41
	v_dual_add_f32 v38, v63, v83 :: v_dual_fmac_f32 v41, -0.5, v84
	v_dual_fmac_f32 v42, -0.5, v92 :: v_dual_add_f32 v27, v32, v54
	v_fmamk_f32 v55, v24, 0xbf737871, v44
	v_dual_fmac_f32 v51, 0x3f167918, v34 :: v_dual_fmac_f32 v52, 0x3f167918, v33
	v_dual_add_f32 v39, v85, v86 :: v_dual_add_f32 v50, v90, v91
	v_dual_fmac_f32 v35, 0x3f737871, v34 :: v_dual_add_f32 v46, v46, v93
	v_dual_fmamk_f32 v53, v23, 0xbf737871, v43 :: v_dual_fmac_f32 v94, 0xbf737871, v33
	v_add_f32_e32 v27, v27, v58
	v_dual_fmac_f32 v43, 0x3f737871, v23 :: v_dual_add_f32 v26, v26, v28
	v_fmamk_f32 v54, v45, 0x3f737871, v47
	v_dual_fmac_f32 v47, 0xbf737871, v45 :: v_dual_add_f32 v40, v40, v56
	v_dual_fmamk_f32 v32, v62, 0xbf737871, v41 :: v_dual_add_f32 v25, v25, v29
	v_dual_fmac_f32 v41, 0x3f737871, v62 :: v_dual_fmac_f32 v44, 0x3f737871, v24
	v_dual_fmac_f32 v51, 0x3e9e377a, v31 :: v_dual_fmac_f32 v52, 0x3e9e377a, v21
	v_fmamk_f32 v28, v61, 0x3f737871, v37
	v_fmac_f32_e32 v37, 0xbf737871, v61
	v_fmamk_f32 v56, v89, 0x3f737871, v42
	v_dual_fmac_f32 v94, 0xbf167918, v34 :: v_dual_fmac_f32 v35, 0xbf167918, v33
	v_dual_fmac_f32 v53, 0xbf167918, v45 :: v_dual_fmac_f32 v54, 0xbf167918, v23
	;; [unrolled: 1-line block ×3, first 2 shown]
	v_dual_add_f32 v23, v26, v30 :: v_dual_add_f32 v26, v40, v60
	v_dual_fmac_f32 v37, 0xbf167918, v62 :: v_dual_fmac_f32 v56, 0xbf167918, v24
	v_fmac_f32_e32 v41, 0xbf167918, v61
	v_fmac_f32_e32 v44, 0x3f167918, v89
	;; [unrolled: 1-line block ×4, first 2 shown]
	v_dual_fmac_f32 v94, 0x3e9e377a, v31 :: v_dual_fmac_f32 v35, 0x3e9e377a, v21
	v_dual_fmac_f32 v53, 0x3e9e377a, v36 :: v_dual_fmac_f32 v54, 0x3e9e377a, v22
	;; [unrolled: 1-line block ×3, first 2 shown]
	v_dual_add_f32 v21, v25, v23 :: v_dual_add_f32 v22, v27, v26
	v_sub_f32_e32 v23, v25, v23
	v_dual_fmac_f32 v41, 0x3e9e377a, v39 :: v_dual_fmac_f32 v44, 0x3e9e377a, v50
	v_fmac_f32_e32 v56, 0x3e9e377a, v46
	v_dual_fmac_f32 v43, 0x3f167918, v45 :: v_dual_fmac_f32 v28, 0x3f167918, v62
	v_fmac_f32_e32 v42, 0x3f167918, v24
	v_sub_f32_e32 v24, v27, v26
	v_fmac_f32_e32 v55, 0x3e9e377a, v50
	v_mul_f32_e32 v25, 0x3e9e377a, v41
	v_mul_f32_e32 v34, 0x3f737871, v56
	v_fmac_f32_e32 v37, 0x3e9e377a, v38
	v_dual_fmac_f32 v43, 0x3e9e377a, v36 :: v_dual_fmac_f32 v28, 0x3e9e377a, v38
	v_mul_f32_e32 v45, 0xbf737871, v32
	v_mul_f32_e32 v33, 0x3f167918, v55
	v_fmac_f32_e32 v42, 0x3e9e377a, v46
	v_mul_f32_e32 v29, 0x3f4f1bbd, v44
	v_fmac_f32_e32 v34, 0x3e9e377a, v32
	v_fmac_f32_e32 v45, 0x3e9e377a, v56
	v_mul_f32_e32 v26, 0x3f4f1bbd, v37
	v_mul_f32_e32 v39, 0xbf167918, v28
	;; [unrolled: 1-line block ×3, first 2 shown]
	v_fma_f32 v40, 0x3f737871, v42, -v25
	v_dual_fmac_f32 v33, 0x3f4f1bbd, v28 :: v_dual_sub_f32 v38, v52, v34
	v_fma_f32 v42, 0x3f167918, v44, -v26
	v_fma_f32 v44, 0xbf167918, v37, -v29
	v_dual_add_f32 v28, v54, v45 :: v_dual_fmac_f32 v39, 0x3f4f1bbd, v55
	s_delay_alu instid0(VALU_DEP_4) | instskip(SKIP_1) | instid1(VALU_DEP_4)
	v_sub_f32_e32 v36, v51, v33
	v_add_f32_e32 v25, v51, v33
	v_add_f32_e32 v32, v43, v44
	v_fma_f32 v41, 0xbf737871, v41, -v27
	v_dual_add_f32 v26, v53, v39 :: v_dual_add_f32 v27, v52, v34
	v_add_f32_e32 v29, v35, v40
	v_add_f32_e32 v31, v94, v42
	v_sub_f32_e32 v42, v94, v42
	v_add_f32_e32 v30, v47, v41
	v_dual_sub_f32 v40, v35, v40 :: v_dual_sub_f32 v37, v53, v39
	v_sub_f32_e32 v39, v54, v45
	v_sub_f32_e32 v41, v47, v41
	;; [unrolled: 1-line block ×3, first 2 shown]
	ds_store_2addr_b64 v100, v[21:22], v[25:26] offset1:6
	ds_store_2addr_b64 v100, v[27:28], v[29:30] offset0:12 offset1:18
	ds_store_2addr_b64 v100, v[31:32], v[23:24] offset0:24 offset1:30
	;; [unrolled: 1-line block ×4, first 2 shown]
	s_waitcnt lgkmcnt(0)
	s_barrier
	buffer_gl0_inv
	ds_load_2addr_b64 v[44:47], v95 offset1:180
	ds_load_2addr_b64 v[52:55], v48 offset0:40 offset1:220
	ds_load_2addr_b64 v[48:51], v49 offset0:16 offset1:196
	s_and_saveexec_b32 s0, vcc_lo
	s_cbranch_execz .LBB0_9
; %bb.8:
	v_add_nc_u32_e32 v16, 0x200, v95
	v_add_nc_u32_e32 v17, 0xe00, v95
	ds_load_2addr_b64 v[36:39], v16 offset0:44 offset1:224
	ds_load_2addr_b64 v[40:43], v17 offset0:20 offset1:200
	;; [unrolled: 1-line block ×3, first 2 shown]
.LBB0_9:
	s_or_b32 exec_lo, exec_lo, s0
	v_subrev_nc_u32_e32 v20, 60, v96
	v_cmp_gt_u16_e64 s0, 60, v96
	s_delay_alu instid0(VALU_DEP_1) | instskip(NEXT) | instid1(VALU_DEP_1)
	v_cndmask_b32_e64 v58, v20, v96, s0
	v_mul_i32_i24_e32 v20, 40, v58
	v_mul_hi_i32_i24_e32 v21, 40, v58
	s_delay_alu instid0(VALU_DEP_2) | instskip(NEXT) | instid1(VALU_DEP_1)
	v_add_co_u32 v20, s0, s2, v20
	v_add_co_ci_u32_e64 v21, s0, s3, v21, s0
	v_cmp_lt_u16_e64 s0, 59, v96
	s_clause 0x1
	global_load_b128 v[24:27], v[20:21], off offset:432
	global_load_b128 v[32:35], v[20:21], off offset:448
	v_and_b32_e32 v22, 0xff, v106
	global_load_b64 v[85:86], v[20:21], off offset:464
	v_mul_lo_u16 v22, 0x89, v22
	s_delay_alu instid0(VALU_DEP_1) | instskip(NEXT) | instid1(VALU_DEP_1)
	v_lshrrev_b16 v98, 13, v22
	v_mul_lo_u16 v20, v98, 60
	s_delay_alu instid0(VALU_DEP_1) | instskip(NEXT) | instid1(VALU_DEP_1)
	v_sub_nc_u16 v20, v106, v20
	v_and_b32_e32 v99, 0xff, v20
	s_delay_alu instid0(VALU_DEP_1)
	v_mad_u64_u32 v[56:57], null, v99, 40, s[2:3]
	s_clause 0x2
	global_load_b128 v[28:31], v[56:57], off offset:432
	global_load_b128 v[20:23], v[56:57], off offset:448
	global_load_b64 v[83:84], v[56:57], off offset:464
	v_cndmask_b32_e64 v56, 0, 0x168, s0
	s_waitcnt vmcnt(0) lgkmcnt(0)
	s_barrier
	buffer_gl0_inv
	v_dual_mul_f32 v59, v53, v27 :: v_dual_add_nc_u32 v56, v58, v56
	s_delay_alu instid0(VALU_DEP_1) | instskip(SKIP_3) | instid1(VALU_DEP_4)
	v_lshl_add_u32 v104, v56, 3, v97
	v_mul_f32_e32 v57, v47, v25
	v_mul_f32_e32 v58, v46, v25
	v_dual_mul_f32 v60, v52, v27 :: v_dual_mul_f32 v89, v50, v86
	v_dual_mul_f32 v61, v55, v33 :: v_dual_add_nc_u32 v56, 0x400, v104
	v_dual_mul_f32 v62, v54, v33 :: v_dual_mul_f32 v63, v49, v35
	v_dual_mul_f32 v87, v48, v35 :: v_dual_mul_f32 v88, v51, v86
	v_fma_f32 v57, v46, v24, -v57
	v_fmac_f32_e32 v58, v47, v24
	v_fma_f32 v46, v52, v26, -v59
	s_delay_alu instid0(VALU_DEP_4)
	v_fmac_f32_e32 v87, v49, v34
	v_dual_fmac_f32 v60, v53, v26 :: v_dual_fmac_f32 v89, v51, v85
	v_fma_f32 v47, v54, v32, -v61
	v_fmac_f32_e32 v62, v55, v32
	v_fma_f32 v48, v48, v34, -v63
	v_fma_f32 v49, v50, v85, -v88
	v_add_f32_e32 v50, v44, v46
	v_dual_sub_f32 v52, v60, v87 :: v_dual_add_f32 v53, v45, v60
	s_delay_alu instid0(VALU_DEP_4) | instskip(NEXT) | instid1(VALU_DEP_4)
	v_dual_add_f32 v51, v46, v48 :: v_dual_add_f32 v54, v60, v87
	v_add_f32_e32 v59, v47, v49
	v_dual_add_f32 v55, v57, v47 :: v_dual_sub_f32 v60, v62, v89
	v_add_f32_e32 v61, v58, v62
	v_add_f32_e32 v62, v62, v89
	v_dual_sub_f32 v46, v46, v48 :: v_dual_sub_f32 v47, v47, v49
	s_delay_alu instid0(VALU_DEP_4)
	v_dual_add_f32 v48, v50, v48 :: v_dual_add_f32 v49, v55, v49
	v_fma_f32 v63, -0.5, v51, v44
	v_add_f32_e32 v50, v53, v87
	v_fmac_f32_e32 v57, -0.5, v59
	v_mul_f32_e32 v55, v40, v31
	v_dual_add_f32 v51, v61, v89 :: v_dual_fmac_f32 v58, -0.5, v62
	v_fma_f32 v87, -0.5, v54, v45
	v_dual_mul_f32 v53, v39, v29 :: v_dual_mul_f32 v54, v41, v31
	v_dual_mul_f32 v59, v38, v29 :: v_dual_mul_f32 v88, v17, v23
	v_dual_mul_f32 v61, v43, v21 :: v_dual_fmamk_f32 v92, v52, 0x3f5db3d7, v63
	s_delay_alu instid0(VALU_DEP_4)
	v_dual_mul_f32 v90, v19, v84 :: v_dual_fmamk_f32 v93, v46, 0xbf5db3d7, v87
	v_mul_f32_e32 v91, v18, v84
	v_fmac_f32_e32 v63, 0xbf5db3d7, v52
	v_fmamk_f32 v52, v60, 0x3f5db3d7, v57
	v_dual_fmac_f32 v57, 0xbf5db3d7, v60 :: v_dual_add_f32 v44, v48, v49
	v_fmamk_f32 v60, v47, 0xbf5db3d7, v58
	v_dual_mul_f32 v62, v42, v21 :: v_dual_mul_f32 v89, v16, v23
	v_fma_f32 v94, v38, v28, -v53
	v_fma_f32 v38, v40, v30, -v54
	s_delay_alu instid0(VALU_DEP_4)
	v_dual_fmac_f32 v55, v41, v30 :: v_dual_mul_f32 v40, 0x3f5db3d7, v60
	v_fmac_f32_e32 v59, v39, v28
	v_fma_f32 v39, v42, v20, -v61
	v_fma_f32 v16, v16, v22, -v88
	;; [unrolled: 1-line block ×3, first 2 shown]
	v_dual_fmac_f32 v87, 0x3f5db3d7, v46 :: v_dual_fmac_f32 v58, 0x3f5db3d7, v47
	v_dual_add_f32 v45, v50, v51 :: v_dual_sub_f32 v46, v48, v49
	v_dual_sub_f32 v47, v50, v51 :: v_dual_fmac_f32 v62, v43, v20
	v_dual_fmac_f32 v89, v17, v22 :: v_dual_mul_f32 v42, 0xbf5db3d7, v52
	v_dual_fmac_f32 v91, v19, v83 :: v_dual_sub_f32 v88, v38, v16
	v_dual_add_f32 v19, v38, v16 :: v_dual_add_f32 v50, v39, v18
	v_mul_f32_e32 v41, -0.5, v57
	s_delay_alu instid0(VALU_DEP_3) | instskip(SKIP_3) | instid1(VALU_DEP_3)
	v_dual_mul_f32 v43, -0.5, v58 :: v_dual_sub_f32 v90, v62, v91
	v_dual_add_f32 v17, v36, v38 :: v_dual_fmac_f32 v40, 0.5, v52
	v_dual_sub_f32 v61, v55, v89 :: v_dual_fmac_f32 v42, 0.5, v60
	v_dual_add_f32 v48, v37, v55 :: v_dual_add_f32 v49, v55, v89
	v_add_f32_e32 v16, v17, v16
	v_dual_add_f32 v38, v94, v39 :: v_dual_add_f32 v51, v59, v62
	v_fmac_f32_e32 v36, -0.5, v19
	v_dual_add_f32 v53, v62, v91 :: v_dual_fmac_f32 v94, -0.5, v50
	v_sub_f32_e32 v39, v39, v18
	v_dual_fmac_f32 v41, 0x3f5db3d7, v58 :: v_dual_sub_f32 v52, v92, v40
	v_dual_fmac_f32 v43, 0xbf5db3d7, v57 :: v_dual_add_f32 v18, v38, v18
	v_dual_add_f32 v17, v48, v89 :: v_dual_fmamk_f32 v38, v61, 0x3f5db3d7, v36
	v_fmac_f32_e32 v37, -0.5, v49
	v_dual_add_f32 v19, v51, v91 :: v_dual_fmac_f32 v36, 0xbf5db3d7, v61
	v_fmac_f32_e32 v59, -0.5, v53
	v_dual_fmamk_f32 v57, v90, 0x3f5db3d7, v94 :: v_dual_add_f32 v48, v92, v40
	v_dual_add_f32 v50, v63, v41 :: v_dual_add_f32 v49, v93, v42
	v_dual_sub_f32 v54, v63, v41 :: v_dual_sub_f32 v53, v93, v42
	v_dual_fmac_f32 v94, 0xbf5db3d7, v90 :: v_dual_add_f32 v51, v87, v43
	v_fmamk_f32 v40, v88, 0xbf5db3d7, v37
	v_fmamk_f32 v58, v39, 0xbf5db3d7, v59
	v_dual_fmac_f32 v37, 0x3f5db3d7, v88 :: v_dual_sub_f32 v88, v17, v19
	v_dual_sub_f32 v55, v87, v43 :: v_dual_mul_f32 v42, 0xbf5db3d7, v57
	v_sub_f32_e32 v87, v16, v18
	ds_store_2addr_b64 v104, v[44:45], v[48:49] offset1:60
	ds_store_2addr_b64 v104, v[50:51], v[46:47] offset0:120 offset1:180
	ds_store_2addr_b64 v56, v[52:53], v[54:55] offset0:112 offset1:172
	v_dual_fmac_f32 v42, 0.5, v58 :: v_dual_fmac_f32 v59, 0x3f5db3d7, v39
	v_mul_f32_e32 v39, -0.5, v94
	s_delay_alu instid0(VALU_DEP_2) | instskip(NEXT) | instid1(VALU_DEP_2)
	v_dual_sub_f32 v90, v40, v42 :: v_dual_mul_f32 v43, -0.5, v59
	v_fmac_f32_e32 v39, 0x3f5db3d7, v59
	s_delay_alu instid0(VALU_DEP_2) | instskip(SKIP_1) | instid1(VALU_DEP_3)
	v_fmac_f32_e32 v43, 0xbf5db3d7, v94
	v_mul_f32_e32 v41, 0x3f5db3d7, v58
	v_sub_f32_e32 v91, v36, v39
	s_delay_alu instid0(VALU_DEP_2) | instskip(NEXT) | instid1(VALU_DEP_1)
	v_dual_sub_f32 v92, v37, v43 :: v_dual_fmac_f32 v41, 0.5, v57
	v_sub_f32_e32 v89, v38, v41
	s_and_saveexec_b32 s0, vcc_lo
	s_cbranch_execz .LBB0_11
; %bb.10:
	v_dual_add_f32 v37, v37, v43 :: v_dual_and_b32 v44, 0xffff, v98
	v_dual_add_f32 v42, v40, v42 :: v_dual_add_f32 v17, v17, v19
	v_add_f32_e32 v16, v16, v18
	s_delay_alu instid0(VALU_DEP_3) | instskip(SKIP_1) | instid1(VALU_DEP_2)
	v_mul_u32_u24_e32 v44, 0x168, v44
	v_dual_add_f32 v36, v36, v39 :: v_dual_add_f32 v41, v38, v41
	v_add_nc_u32_e32 v44, v44, v99
	s_delay_alu instid0(VALU_DEP_1) | instskip(NEXT) | instid1(VALU_DEP_1)
	v_lshl_add_u32 v40, v44, 3, v97
	v_add_nc_u32_e32 v18, 0x400, v40
	ds_store_2addr_b64 v40, v[16:17], v[41:42] offset1:60
	ds_store_2addr_b64 v40, v[36:37], v[87:88] offset0:120 offset1:180
	ds_store_2addr_b64 v18, v[89:90], v[91:92] offset0:112 offset1:172
.LBB0_11:
	s_or_b32 exec_lo, exec_lo, s0
	v_add_nc_u32_e32 v16, 0x400, v95
	v_add_nc_u32_e32 v17, 0x1400, v95
	;; [unrolled: 1-line block ×3, first 2 shown]
	s_waitcnt lgkmcnt(0)
	s_barrier
	buffer_gl0_inv
	ds_load_2addr_b64 v[52:55], v95 offset1:108
	ds_load_2addr_b64 v[48:51], v16 offset0:88 offset1:232
	ds_load_2addr_b64 v[60:63], v17 offset0:80 offset1:188
	;; [unrolled: 1-line block ×3, first 2 shown]
	ds_load_b64 v[93:94], v95 offset:7488
	v_cmp_gt_u16_e64 s0, 36, v96
	s_delay_alu instid0(VALU_DEP_1)
	s_and_saveexec_b32 s1, s0
	s_cbranch_execz .LBB0_13
; %bb.12:
	ds_load_b64 v[87:88], v95 offset:2592
	ds_load_b64 v[89:90], v95 offset:5472
	;; [unrolled: 1-line block ×3, first 2 shown]
.LBB0_13:
	s_or_b32 exec_lo, exec_lo, s1
	v_lshlrev_b32_e32 v16, 4, v96
	v_lshlrev_b32_e32 v17, 4, v106
	v_lshl_add_u32 v103, v105, 3, v103
	s_clause 0x1
	global_load_b128 v[44:47], v16, s[2:3] offset:2832
	global_load_b128 v[40:43], v17, s[2:3] offset:2832
	s_waitcnt vmcnt(1) lgkmcnt(3)
	v_mul_f32_e32 v106, v50, v45
	v_dual_mul_f32 v105, v51, v45 :: v_dual_add_nc_u32 v16, 0xd80, v16
	s_waitcnt lgkmcnt(2)
	v_mul_f32_e32 v107, v61, v47
	s_waitcnt vmcnt(0) lgkmcnt(1)
	v_dual_mul_f32 v108, v60, v47 :: v_dual_mul_f32 v109, v57, v41
	v_dual_mul_f32 v110, v56, v41 :: v_dual_mul_f32 v111, v63, v43
	global_load_b128 v[36:39], v16, s[2:3] offset:2832
	v_add_co_u32 v16, s1, 0x144, v96
	s_delay_alu instid0(VALU_DEP_1) | instskip(SKIP_1) | instid1(VALU_DEP_1)
	v_add_co_ci_u32_e64 v17, null, 0, 0, s1
	v_add_co_u32 v18, s1, 0xffffffdc, v96
	v_add_co_ci_u32_e64 v19, null, 0, -1, s1
	v_fma_f32 v50, v50, v44, -v105
	s_delay_alu instid0(VALU_DEP_3) | instskip(SKIP_1) | instid1(VALU_DEP_4)
	v_cndmask_b32_e64 v16, v18, v16, s0
	v_fmac_f32_e32 v106, v51, v44
	v_cndmask_b32_e64 v17, v19, v17, s0
	v_fma_f32 v51, v60, v46, -v107
	v_fma_f32 v56, v56, v40, -v109
	v_fmac_f32_e32 v108, v61, v46
	s_delay_alu instid0(VALU_DEP_4) | instskip(NEXT) | instid1(VALU_DEP_3)
	v_lshlrev_b64 v[16:17], 4, v[16:17]
	v_add_f32_e32 v107, v54, v56
	s_delay_alu instid0(VALU_DEP_2) | instskip(NEXT) | instid1(VALU_DEP_1)
	v_add_co_u32 v16, s1, s2, v16
	v_add_co_ci_u32_e64 v17, s1, s3, v17, s1
	global_load_b128 v[16:19], v[16:17], off offset:2832
	s_waitcnt vmcnt(1) lgkmcnt(0)
	v_dual_mul_f32 v60, v59, v37 :: v_dual_mul_f32 v105, v93, v39
	v_fmac_f32_e32 v110, v57, v40
	v_fma_f32 v57, v62, v42, -v111
	v_mul_f32_e32 v61, v58, v37
	v_mul_f32_e32 v112, v62, v43
	;; [unrolled: 1-line block ×3, first 2 shown]
	v_fma_f32 v58, v58, v36, -v60
	v_fmac_f32_e32 v105, v94, v38
	v_fmac_f32_e32 v61, v59, v36
	v_add_f32_e32 v59, v52, v50
	v_dual_fmac_f32 v112, v63, v42 :: v_dual_sub_f32 v63, v106, v108
	v_fma_f32 v62, v93, v38, -v62
	v_dual_add_f32 v60, v50, v51 :: v_dual_add_f32 v93, v53, v106
	v_dual_add_f32 v94, v106, v108 :: v_dual_add_f32 v109, v56, v57
	v_dual_sub_f32 v106, v50, v51 :: v_dual_add_f32 v113, v55, v110
	v_dual_sub_f32 v111, v110, v112 :: v_dual_sub_f32 v114, v56, v57
	v_add_f32_e32 v110, v110, v112
	v_dual_add_f32 v50, v59, v51 :: v_dual_add_f32 v51, v93, v108
	v_fma_f32 v52, -0.5, v60, v52
	v_fma_f32 v53, -0.5, v94, v53
	v_dual_add_f32 v56, v107, v57 :: v_dual_add_f32 v57, v113, v112
	v_fma_f32 v54, -0.5, v109, v54
	v_add_f32_e32 v93, v48, v58
	v_dual_add_f32 v94, v58, v62 :: v_dual_sub_f32 v107, v61, v105
	v_add_f32_e32 v109, v61, v105
	s_waitcnt vmcnt(0)
	v_dual_mul_f32 v112, v90, v17 :: v_dual_mul_f32 v115, v92, v19
	v_dual_mul_f32 v113, v89, v17 :: v_dual_mul_f32 v116, v91, v19
	v_dual_fmac_f32 v55, -0.5, v110 :: v_dual_add_f32 v108, v49, v61
	v_sub_f32_e32 v110, v58, v62
	v_fmamk_f32 v58, v63, 0x3f5db3d7, v52
	v_dual_fmac_f32 v52, 0xbf5db3d7, v63 :: v_dual_fmamk_f32 v59, v106, 0xbf5db3d7, v53
	s_delay_alu instid0(VALU_DEP_4)
	v_dual_add_f32 v62, v93, v62 :: v_dual_add_f32 v63, v108, v105
	v_fma_f32 v48, -0.5, v94, v48
	v_dual_fmac_f32 v49, -0.5, v109 :: v_dual_fmac_f32 v116, v92, v18
	v_fma_f32 v93, v89, v16, -v112
	v_fmac_f32_e32 v113, v90, v16
	v_fma_f32 v91, v91, v18, -v115
	v_fmac_f32_e32 v53, 0x3f5db3d7, v106
	v_fmamk_f32 v89, v107, 0x3f5db3d7, v48
	v_fmac_f32_e32 v48, 0xbf5db3d7, v107
	v_fmamk_f32 v90, v110, 0xbf5db3d7, v49
	v_fmac_f32_e32 v49, 0x3f5db3d7, v110
	ds_store_b64 v95, v[58:59] offset:2880
	ds_store_b64 v95, v[52:53] offset:5760
	ds_store_2addr_b64 v95, v[50:51], v[56:57] offset1:108
	v_add_f32_e32 v52, v113, v116
	v_dual_add_f32 v50, v93, v91 :: v_dual_add_f32 v51, v87, v93
	v_dual_sub_f32 v53, v113, v116 :: v_dual_add_f32 v56, v88, v113
	s_delay_alu instid0(VALU_DEP_2) | instskip(SKIP_1) | instid1(VALU_DEP_3)
	v_dual_fmac_f32 v88, -0.5, v52 :: v_dual_fmac_f32 v87, -0.5, v50
	v_sub_f32_e32 v50, v93, v91
	v_dual_add_f32 v93, v51, v91 :: v_dual_add_f32 v94, v56, v116
	s_delay_alu instid0(VALU_DEP_3) | instskip(NEXT) | instid1(VALU_DEP_3)
	v_dual_fmamk_f32 v60, v111, 0x3f5db3d7, v54 :: v_dual_fmamk_f32 v91, v53, 0x3f5db3d7, v87
	v_dual_fmac_f32 v87, 0xbf5db3d7, v53 :: v_dual_fmamk_f32 v92, v50, 0xbf5db3d7, v88
	v_fmac_f32_e32 v88, 0x3f5db3d7, v50
	v_dual_fmac_f32 v54, 0xbf5db3d7, v111 :: v_dual_fmamk_f32 v61, v114, 0xbf5db3d7, v55
	v_fmac_f32_e32 v55, 0x3f5db3d7, v114
	ds_store_b64 v95, v[62:63] offset:1728
	ds_store_b64 v95, v[60:61] offset:3744
	;; [unrolled: 1-line block ×5, first 2 shown]
	s_and_saveexec_b32 s1, s0
	s_cbranch_execz .LBB0_15
; %bb.14:
	ds_store_b64 v95, v[93:94] offset:2592
	ds_store_b64 v95, v[91:92] offset:5472
	;; [unrolled: 1-line block ×3, first 2 shown]
.LBB0_15:
	s_or_b32 exec_lo, exec_lo, s1
	v_add_co_u32 v50, s1, 0x21c0, v66
	s_delay_alu instid0(VALU_DEP_1) | instskip(SKIP_1) | instid1(VALU_DEP_1)
	v_add_co_ci_u32_e64 v51, s1, 0, v67, s1
	v_add_co_u32 v52, s1, 0x2000, v66
	v_add_co_ci_u32_e64 v53, s1, 0, v67, s1
	v_add_co_u32 v54, s1, 0x3000, v66
	s_delay_alu instid0(VALU_DEP_1)
	v_add_co_ci_u32_e64 v55, s1, 0, v67, s1
	s_waitcnt lgkmcnt(0)
	s_barrier
	buffer_gl0_inv
	s_clause 0x5
	global_load_b64 v[52:53], v[52:53], off offset:448
	global_load_b64 v[60:61], v[50:51], off offset:1440
	;; [unrolled: 1-line block ×6, first 2 shown]
	ds_load_2addr_b64 v[56:59], v95 offset1:180
	v_add_nc_u32_e32 v55, 0xa00, v95
	s_waitcnt vmcnt(5) lgkmcnt(0)
	v_dual_mul_f32 v121, v56, v53 :: v_dual_add_nc_u32 v54, 0x1600, v95
	v_mul_f32_e32 v122, v57, v53
	ds_load_2addr_b64 v[105:108], v55 offset0:40 offset1:220
	ds_load_2addr_b64 v[109:112], v54 offset0:16 offset1:196
	s_waitcnt vmcnt(4)
	v_mul_f32_e32 v123, v59, v61
	v_mul_f32_e32 v53, v58, v61
	s_waitcnt vmcnt(2) lgkmcnt(1)
	v_mul_f32_e32 v124, v106, v116
	s_waitcnt vmcnt(1) lgkmcnt(0)
	v_dual_mul_f32 v61, v105, v116 :: v_dual_mul_f32 v126, v110, v118
	v_mul_f32_e32 v125, v108, v114
	v_mul_f32_e32 v116, v107, v114
	s_waitcnt vmcnt(0)
	v_dual_mul_f32 v114, v109, v118 :: v_dual_mul_f32 v127, v112, v120
	v_mul_f32_e32 v118, v111, v120
	v_fma_f32 v120, v56, v52, -v122
	v_dual_fmac_f32 v121, v57, v52 :: v_dual_fmac_f32 v116, v108, v113
	v_fma_f32 v52, v58, v60, -v123
	v_dual_fmac_f32 v53, v59, v60 :: v_dual_fmac_f32 v114, v110, v117
	v_fma_f32 v60, v105, v115, -v124
	v_fmac_f32_e32 v61, v106, v115
	v_fma_f32 v115, v107, v113, -v125
	v_fma_f32 v113, v109, v117, -v126
	;; [unrolled: 1-line block ×3, first 2 shown]
	v_fmac_f32_e32 v118, v112, v119
	ds_store_2addr_b64 v95, v[120:121], v[52:53] offset1:180
	ds_store_2addr_b64 v55, v[60:61], v[115:116] offset0:40 offset1:220
	ds_store_2addr_b64 v54, v[113:114], v[117:118] offset0:16 offset1:196
	s_and_saveexec_b32 s2, vcc_lo
	s_cbranch_execz .LBB0_17
; %bb.16:
	s_clause 0x2
	global_load_b64 v[60:61], v[50:51], off offset:864
	global_load_b64 v[109:110], v[50:51], off offset:2304
	;; [unrolled: 1-line block ×3, first 2 shown]
	v_add_co_u32 v50, s1, 0x1000, v50
	s_delay_alu instid0(VALU_DEP_1)
	v_add_co_ci_u32_e64 v51, s1, 0, v51, s1
	v_add_nc_u32_e32 v121, 0x200, v95
	v_add_nc_u32_e32 v122, 0xe00, v95
	s_clause 0x2
	global_load_b64 v[113:114], v[50:51], off offset:1088
	global_load_b64 v[115:116], v[50:51], off offset:2528
	;; [unrolled: 1-line block ×3, first 2 shown]
	ds_load_2addr_b64 v[50:53], v121 offset0:44 offset1:224
	ds_load_2addr_b64 v[56:59], v122 offset0:20 offset1:200
	s_waitcnt vmcnt(5) lgkmcnt(1)
	v_dual_mul_f32 v120, v50, v61 :: v_dual_add_nc_u32 v123, 0x1800, v95
	s_waitcnt vmcnt(4)
	v_mul_f32_e32 v124, v53, v110
	ds_load_2addr_b64 v[105:108], v123 offset0:60 offset1:240
	v_mul_f32_e32 v119, v51, v61
	v_dual_mul_f32 v61, v52, v110 :: v_dual_fmac_f32 v120, v51, v60
	s_waitcnt vmcnt(3) lgkmcnt(1)
	v_mul_f32_e32 v110, v56, v112
	v_mul_f32_e32 v125, v57, v112
	v_fma_f32 v119, v50, v60, -v119
	s_waitcnt vmcnt(2)
	v_dual_mul_f32 v50, v59, v114 :: v_dual_fmac_f32 v61, v53, v109
	v_dual_fmac_f32 v110, v57, v111 :: v_dual_mul_f32 v51, v58, v114
	v_fma_f32 v60, v52, v109, -v124
	v_fma_f32 v109, v56, v111, -v125
	s_delay_alu instid0(VALU_DEP_4)
	v_fma_f32 v50, v58, v113, -v50
	s_waitcnt vmcnt(1) lgkmcnt(0)
	v_dual_fmac_f32 v51, v59, v113 :: v_dual_mul_f32 v52, v106, v116
	s_waitcnt vmcnt(0)
	v_mul_f32_e32 v57, v107, v118
	v_dual_mul_f32 v53, v105, v116 :: v_dual_mul_f32 v56, v108, v118
	s_delay_alu instid0(VALU_DEP_3) | instskip(NEXT) | instid1(VALU_DEP_3)
	v_fma_f32 v52, v105, v115, -v52
	v_fmac_f32_e32 v57, v108, v117
	s_delay_alu instid0(VALU_DEP_3) | instskip(NEXT) | instid1(VALU_DEP_4)
	v_fmac_f32_e32 v53, v106, v115
	v_fma_f32 v56, v107, v117, -v56
	ds_store_2addr_b64 v121, v[119:120], v[60:61] offset0:44 offset1:224
	ds_store_2addr_b64 v122, v[109:110], v[50:51] offset0:20 offset1:200
	;; [unrolled: 1-line block ×3, first 2 shown]
.LBB0_17:
	s_or_b32 exec_lo, exec_lo, s2
	s_waitcnt lgkmcnt(0)
	s_barrier
	buffer_gl0_inv
	ds_load_2addr_b64 v[50:53], v95 offset1:180
	ds_load_2addr_b64 v[58:61], v55 offset0:40 offset1:220
	ds_load_2addr_b64 v[54:57], v54 offset0:16 offset1:196
	s_and_saveexec_b32 s1, vcc_lo
	s_cbranch_execz .LBB0_19
; %bb.18:
	v_lshl_add_u32 v87, v96, 3, v97
	ds_load_b64 v[62:63], v95 offset:864
	ds_load_b64 v[48:49], v95 offset:3744
	;; [unrolled: 1-line block ×6, first 2 shown]
.LBB0_19:
	s_or_b32 exec_lo, exec_lo, s1
	s_waitcnt lgkmcnt(0)
	v_dual_add_f32 v105, v58, v54 :: v_dual_add_f32 v108, v51, v59
	v_dual_add_f32 v106, v50, v58 :: v_dual_sub_f32 v107, v59, v55
	v_add_f32_e32 v59, v59, v55
	s_delay_alu instid0(VALU_DEP_3) | instskip(SKIP_1) | instid1(VALU_DEP_4)
	v_fma_f32 v50, -0.5, v105, v50
	v_add_f32_e32 v105, v61, v57
	v_add_f32_e32 v111, v106, v54
	v_sub_f32_e32 v54, v58, v54
	v_fma_f32 v51, -0.5, v59, v51
	v_fmamk_f32 v112, v107, 0xbf5db3d7, v50
	v_fmac_f32_e32 v50, 0x3f5db3d7, v107
	v_dual_add_f32 v58, v60, v56 :: v_dual_add_f32 v59, v53, v61
	v_fmac_f32_e32 v53, -0.5, v105
	v_sub_f32_e32 v105, v60, v56
	v_add_f32_e32 v60, v52, v60
	s_delay_alu instid0(VALU_DEP_4) | instskip(SKIP_4) | instid1(VALU_DEP_4)
	v_fma_f32 v52, -0.5, v58, v52
	v_dual_sub_f32 v58, v61, v57 :: v_dual_add_f32 v55, v108, v55
	v_fmamk_f32 v114, v54, 0x3f5db3d7, v51
	v_fmamk_f32 v61, v105, 0x3f5db3d7, v53
	v_dual_fmac_f32 v51, 0xbf5db3d7, v54 :: v_dual_add_f32 v54, v60, v56
	v_fmamk_f32 v56, v58, 0xbf5db3d7, v52
	v_dual_fmac_f32 v52, 0x3f5db3d7, v58 :: v_dual_add_f32 v57, v59, v57
	s_delay_alu instid0(VALU_DEP_4) | instskip(SKIP_3) | instid1(VALU_DEP_4)
	v_mul_f32_e32 v60, 0xbf5db3d7, v61
	v_fmac_f32_e32 v53, 0xbf5db3d7, v105
	v_add_f32_e32 v105, v111, v54
	v_sub_f32_e32 v111, v111, v54
	v_fmac_f32_e32 v60, 0.5, v56
	s_delay_alu instid0(VALU_DEP_4)
	v_mul_f32_e32 v58, 0xbf5db3d7, v53
	s_barrier
	v_add_f32_e32 v106, v55, v57
	buffer_gl0_inv
	v_add_f32_e32 v107, v112, v60
	v_dual_mul_f32 v59, 0.5, v61 :: v_dual_fmac_f32 v58, -0.5, v52
	v_dual_sub_f32 v113, v112, v60 :: v_dual_sub_f32 v112, v55, v57
	v_add_f32_e32 v57, v94, v88
	s_delay_alu instid0(VALU_DEP_3) | instskip(SKIP_2) | instid1(VALU_DEP_2)
	v_fmac_f32_e32 v59, 0x3f5db3d7, v56
	v_mul_f32_e32 v53, -0.5, v53
	v_dual_sub_f32 v115, v50, v58 :: v_dual_sub_f32 v116, v48, v91
	v_dual_add_f32 v108, v114, v59 :: v_dual_fmac_f32 v53, 0x3f5db3d7, v52
	v_dual_add_f32 v52, v48, v91 :: v_dual_add_f32 v109, v50, v58
	v_sub_f32_e32 v50, v49, v92
	v_add_f32_e32 v58, v93, v87
	s_delay_alu instid0(VALU_DEP_4) | instskip(NEXT) | instid1(VALU_DEP_4)
	v_add_f32_e32 v110, v51, v53
	v_fma_f32 v54, -0.5, v52, v62
	v_add_f32_e32 v52, v49, v92
	s_delay_alu instid0(VALU_DEP_4) | instskip(SKIP_1) | instid1(VALU_DEP_4)
	v_fma_f32 v117, -0.5, v58, v89
	v_sub_f32_e32 v58, v94, v88
	v_fmamk_f32 v55, v50, 0xbf5db3d7, v54
	s_delay_alu instid0(VALU_DEP_4) | instskip(SKIP_4) | instid1(VALU_DEP_3)
	v_fma_f32 v56, -0.5, v52, v63
	v_fma_f32 v52, -0.5, v57, v90
	v_dual_sub_f32 v57, v93, v87 :: v_dual_fmac_f32 v54, 0x3f5db3d7, v50
	v_fmamk_f32 v118, v58, 0xbf5db3d7, v117
	v_dual_fmac_f32 v117, 0x3f5db3d7, v58 :: v_dual_sub_f32 v114, v114, v59
	v_fmamk_f32 v50, v57, 0x3f5db3d7, v52
	s_delay_alu instid0(VALU_DEP_1) | instskip(NEXT) | instid1(VALU_DEP_1)
	v_mul_f32_e32 v60, 0.5, v50
	v_fmac_f32_e32 v60, 0x3f5db3d7, v118
	v_fmac_f32_e32 v52, 0xbf5db3d7, v57
	v_fmamk_f32 v57, v116, 0x3f5db3d7, v56
	v_fmac_f32_e32 v56, 0xbf5db3d7, v116
	v_sub_f32_e32 v116, v51, v53
	ds_store_b128 v102, v[105:108]
	ds_store_b128 v102, v[109:112] offset:16
	ds_store_b128 v102, v[113:116] offset:32
	v_sub_f32_e32 v51, v57, v60
	v_dual_mul_f32 v59, 0xbf5db3d7, v52 :: v_dual_mul_f32 v58, 0xbf5db3d7, v50
	v_mul_f32_e32 v61, -0.5, v52
	s_delay_alu instid0(VALU_DEP_2) | instskip(NEXT) | instid1(VALU_DEP_2)
	v_fmac_f32_e32 v59, -0.5, v117
	v_dual_fmac_f32 v61, 0x3f5db3d7, v117 :: v_dual_fmac_f32 v58, 0.5, v118
	s_delay_alu instid0(VALU_DEP_1) | instskip(NEXT) | instid1(VALU_DEP_2)
	v_dual_sub_f32 v52, v54, v59 :: v_dual_sub_f32 v53, v56, v61
	v_sub_f32_e32 v50, v55, v58
	s_and_saveexec_b32 s1, vcc_lo
	s_cbranch_execz .LBB0_21
; %bb.20:
	v_dual_add_f32 v49, v63, v49 :: v_dual_add_f32 v48, v62, v48
	v_dual_add_f32 v63, v90, v94 :: v_dual_add_f32 v62, v89, v93
	;; [unrolled: 1-line block ×3, first 2 shown]
	s_delay_alu instid0(VALU_DEP_3) | instskip(NEXT) | instid1(VALU_DEP_3)
	v_dual_add_f32 v49, v49, v92 :: v_dual_add_f32 v48, v48, v91
	v_dual_add_f32 v88, v63, v88 :: v_dual_add_f32 v87, v62, v87
	;; [unrolled: 1-line block ×3, first 2 shown]
	s_delay_alu instid0(VALU_DEP_2)
	v_dual_sub_f32 v63, v49, v88 :: v_dual_sub_f32 v62, v48, v87
	v_dual_add_f32 v88, v49, v88 :: v_dual_add_f32 v87, v48, v87
	v_lshl_add_u32 v48, v101, 3, v97
	ds_store_b128 v48, v[87:90]
	ds_store_b128 v48, v[60:63] offset:16
	ds_store_b128 v48, v[50:53] offset:32
.LBB0_21:
	s_or_b32 exec_lo, exec_lo, s1
	s_waitcnt lgkmcnt(0)
	s_barrier
	buffer_gl0_inv
	ds_load_2addr_b64 v[54:57], v95 offset1:108
	v_add_nc_u32_e32 v48, 0x400, v95
	ds_load_2addr_b64 v[58:61], v48 offset0:88 offset1:196
	v_add_nc_u32_e32 v49, 0xc00, v95
	v_add_nc_u32_e32 v48, 0x1000, v95
	ds_load_2addr_b64 v[87:90], v49 offset0:48 offset1:156
	ds_load_2addr_b64 v[91:94], v48 offset0:136 offset1:244
	s_waitcnt lgkmcnt(3)
	v_mul_f32_e32 v49, v13, v57
	v_dual_mul_f32 v13, v13, v56 :: v_dual_add_nc_u32 v48, 0x1800, v95
	s_delay_alu instid0(VALU_DEP_2) | instskip(NEXT) | instid1(VALU_DEP_2)
	v_fmac_f32_e32 v49, v12, v56
	v_fma_f32 v13, v12, v57, -v13
	s_waitcnt lgkmcnt(2)
	v_mul_f32_e32 v12, v15, v59
	v_mul_f32_e32 v56, v9, v61
	v_mul_f32_e32 v9, v9, v60
	ds_load_2addr_b64 v[105:108], v48 offset0:96 offset1:204
	s_waitcnt lgkmcnt(2)
	v_dual_mul_f32 v57, v11, v88 :: v_dual_mul_f32 v62, v5, v90
	v_dual_mul_f32 v11, v11, v87 :: v_dual_fmac_f32 v12, v14, v58
	v_dual_mul_f32 v15, v15, v58 :: v_dual_fmac_f32 v56, v8, v60
	s_waitcnt lgkmcnt(1)
	s_delay_alu instid0(VALU_DEP_3)
	v_dual_mul_f32 v63, v7, v92 :: v_dual_fmac_f32 v62, v4, v89
	v_fma_f32 v8, v8, v61, -v9
	v_fmac_f32_e32 v57, v10, v87
	v_fma_f32 v9, v10, v88, -v11
	v_dual_mul_f32 v10, v1, v94 :: v_dual_mul_f32 v7, v7, v91
	v_fmac_f32_e32 v63, v6, v91
	v_fma_f32 v14, v14, v59, -v15
	s_waitcnt lgkmcnt(0)
	s_delay_alu instid0(VALU_DEP_3)
	v_fmac_f32_e32 v10, v0, v93
	v_fma_f32 v6, v6, v92, -v7
	v_sub_f32_e32 v59, v12, v57
	s_barrier
	buffer_gl0_inv
	v_add_f32_e32 v88, v9, v6
	v_add_f32_e32 v7, v57, v63
	s_delay_alu instid0(VALU_DEP_1) | instskip(SKIP_1) | instid1(VALU_DEP_1)
	v_fma_f32 v7, -0.5, v7, v54
	v_mul_f32_e32 v5, v5, v89
	v_fma_f32 v4, v4, v90, -v5
	v_mul_f32_e32 v5, v3, v105
	v_mul_f32_e32 v3, v3, v106
	s_delay_alu instid0(VALU_DEP_1) | instskip(SKIP_1) | instid1(VALU_DEP_2)
	v_fmac_f32_e32 v3, v2, v105
	v_mul_f32_e32 v1, v1, v93
	v_dual_add_f32 v15, v54, v12 :: v_dual_sub_f32 v60, v3, v63
	v_add_f32_e32 v61, v12, v3
	s_delay_alu instid0(VALU_DEP_3) | instskip(NEXT) | instid1(VALU_DEP_3)
	v_fma_f32 v0, v0, v94, -v1
	v_add_f32_e32 v59, v59, v60
	v_mul_f32_e32 v11, v82, v108
	v_mul_f32_e32 v82, v82, v107
	v_fma_f32 v5, v2, v106, -v5
	v_fma_f32 v60, -0.5, v61, v54
	s_delay_alu instid0(VALU_DEP_3) | instskip(NEXT) | instid1(VALU_DEP_3)
	v_fma_f32 v54, v81, v108, -v82
	v_sub_f32_e32 v58, v14, v5
	v_sub_f32_e32 v82, v63, v3
	v_add_f32_e32 v1, v15, v57
	s_delay_alu instid0(VALU_DEP_3) | instskip(NEXT) | instid1(VALU_DEP_1)
	v_dual_sub_f32 v15, v9, v6 :: v_dual_fmamk_f32 v2, v58, 0xbf737871, v7
	v_fmamk_f32 v61, v15, 0x3f737871, v60
	v_fmac_f32_e32 v60, 0xbf737871, v15
	s_delay_alu instid0(VALU_DEP_2) | instskip(NEXT) | instid1(VALU_DEP_2)
	v_dual_fmac_f32 v2, 0xbf167918, v15 :: v_dual_fmac_f32 v61, 0xbf167918, v58
	v_fmac_f32_e32 v60, 0x3f167918, v58
	s_delay_alu instid0(VALU_DEP_2)
	v_fmac_f32_e32 v2, 0x3e9e377a, v59
	v_fmac_f32_e32 v11, v81, v107
	v_sub_f32_e32 v81, v57, v12
	v_sub_f32_e32 v57, v57, v63
	v_add_f32_e32 v1, v1, v63
	v_sub_f32_e32 v63, v5, v6
	v_fmac_f32_e32 v7, 0x3f737871, v58
	v_add_f32_e32 v81, v81, v82
	v_fma_f32 v82, -0.5, v88, v55
	v_add_f32_e32 v1, v1, v3
	v_sub_f32_e32 v3, v12, v3
	s_delay_alu instid0(VALU_DEP_4) | instskip(SKIP_1) | instid1(VALU_DEP_3)
	v_fmac_f32_e32 v61, 0x3e9e377a, v81
	v_fmac_f32_e32 v60, 0x3e9e377a, v81
	v_fmamk_f32 v58, v3, 0x3f737871, v82
	v_fmac_f32_e32 v82, 0xbf737871, v3
	v_fmac_f32_e32 v7, 0x3f167918, v15
	s_delay_alu instid0(VALU_DEP_2) | instskip(NEXT) | instid1(VALU_DEP_2)
	v_dual_fmac_f32 v82, 0xbf167918, v57 :: v_dual_add_f32 v87, v55, v14
	v_fmac_f32_e32 v7, 0x3e9e377a, v59
	v_sub_f32_e32 v59, v14, v9
	s_delay_alu instid0(VALU_DEP_3) | instskip(SKIP_1) | instid1(VALU_DEP_2)
	v_add_f32_e32 v15, v87, v9
	v_sub_f32_e32 v9, v9, v14
	v_dual_add_f32 v12, v15, v6 :: v_dual_add_f32 v15, v14, v5
	v_sub_f32_e32 v14, v56, v62
	s_delay_alu instid0(VALU_DEP_2) | instskip(NEXT) | instid1(VALU_DEP_3)
	v_add_f32_e32 v87, v12, v5
	v_fma_f32 v81, -0.5, v15, v55
	v_dual_sub_f32 v5, v6, v5 :: v_dual_add_f32 v6, v49, v56
	v_add_f32_e32 v12, v59, v63
	v_sub_f32_e32 v15, v11, v10
	s_delay_alu instid0(VALU_DEP_4) | instskip(NEXT) | instid1(VALU_DEP_4)
	v_fmamk_f32 v59, v57, 0xbf737871, v81
	v_dual_fmac_f32 v81, 0x3f737871, v57 :: v_dual_add_f32 v6, v6, v62
	v_add_f32_e32 v5, v9, v5
	v_add_f32_e32 v9, v62, v10
	s_delay_alu instid0(VALU_DEP_4) | instskip(NEXT) | instid1(VALU_DEP_4)
	v_fmac_f32_e32 v59, 0x3f167918, v3
	v_fmac_f32_e32 v81, 0xbf167918, v3
	v_add_f32_e32 v3, v6, v10
	v_sub_f32_e32 v63, v10, v11
	v_sub_f32_e32 v10, v62, v10
	v_fmac_f32_e32 v58, 0x3f167918, v57
	v_fmac_f32_e32 v82, 0x3e9e377a, v12
	v_fma_f32 v6, -0.5, v9, v49
	v_add_f32_e32 v9, v56, v11
	s_delay_alu instid0(VALU_DEP_4) | instskip(SKIP_4) | instid1(VALU_DEP_4)
	v_dual_fmac_f32 v59, 0x3e9e377a, v5 :: v_dual_fmac_f32 v58, 0x3e9e377a, v12
	v_dual_sub_f32 v12, v8, v54 :: v_dual_add_f32 v3, v3, v11
	v_fmac_f32_e32 v81, 0x3e9e377a, v5
	v_sub_f32_e32 v5, v4, v0
	v_fmac_f32_e32 v49, -0.5, v9
	v_fmamk_f32 v9, v12, 0xbf737871, v6
	v_fmac_f32_e32 v6, 0x3f737871, v12
	v_add_f32_e32 v14, v14, v15
	v_sub_f32_e32 v11, v56, v11
	v_fmamk_f32 v55, v5, 0x3f737871, v49
	v_fmac_f32_e32 v9, 0xbf167918, v5
	v_fmac_f32_e32 v6, 0x3f167918, v5
	;; [unrolled: 1-line block ×3, first 2 shown]
	v_add_f32_e32 v5, v4, v0
	v_fmac_f32_e32 v55, 0xbf167918, v12
	v_fmac_f32_e32 v9, 0x3e9e377a, v14
	v_sub_f32_e32 v57, v62, v56
	v_dual_fmac_f32 v49, 0x3f167918, v12 :: v_dual_add_f32 v12, v8, v54
	v_fma_f32 v5, -0.5, v5, v13
	s_delay_alu instid0(VALU_DEP_3) | instskip(SKIP_1) | instid1(VALU_DEP_4)
	v_dual_fmac_f32 v6, 0x3e9e377a, v14 :: v_dual_add_f32 v15, v57, v63
	v_add_f32_e32 v14, v13, v8
	v_fmac_f32_e32 v13, -0.5, v12
	v_sub_f32_e32 v12, v8, v4
	s_delay_alu instid0(VALU_DEP_4) | instskip(SKIP_2) | instid1(VALU_DEP_3)
	v_dual_sub_f32 v56, v54, v0 :: v_dual_fmac_f32 v55, 0x3e9e377a, v15
	v_fmac_f32_e32 v49, 0x3e9e377a, v15
	v_fmamk_f32 v15, v11, 0x3f737871, v5
	v_dual_fmac_f32 v5, 0xbf737871, v11 :: v_dual_add_f32 v12, v12, v56
	v_dual_fmamk_f32 v57, v10, 0xbf737871, v13 :: v_dual_sub_f32 v8, v4, v8
	v_sub_f32_e32 v62, v0, v54
	s_delay_alu instid0(VALU_DEP_3) | instskip(SKIP_2) | instid1(VALU_DEP_4)
	v_fmac_f32_e32 v5, 0xbf167918, v10
	v_fmac_f32_e32 v13, 0x3f737871, v10
	;; [unrolled: 1-line block ×3, first 2 shown]
	v_dual_fmac_f32 v57, 0x3f167918, v11 :: v_dual_add_f32 v8, v8, v62
	s_delay_alu instid0(VALU_DEP_4) | instskip(NEXT) | instid1(VALU_DEP_4)
	v_fmac_f32_e32 v5, 0x3e9e377a, v12
	v_dual_fmac_f32 v13, 0xbf167918, v11 :: v_dual_add_f32 v4, v14, v4
	s_delay_alu instid0(VALU_DEP_4) | instskip(NEXT) | instid1(VALU_DEP_4)
	v_fmac_f32_e32 v15, 0x3e9e377a, v12
	v_fmac_f32_e32 v57, 0x3e9e377a, v8
	s_delay_alu instid0(VALU_DEP_4) | instskip(NEXT) | instid1(VALU_DEP_4)
	v_mul_f32_e32 v89, 0xbf167918, v5
	v_fmac_f32_e32 v13, 0x3e9e377a, v8
	v_add_f32_e32 v0, v4, v0
	v_mul_f32_e32 v4, 0xbf167918, v15
	v_mul_f32_e32 v90, 0x3f4f1bbd, v15
	v_fmac_f32_e32 v89, 0xbf4f1bbd, v6
	v_mul_f32_e32 v93, 0xbf4f1bbd, v5
	v_mul_f32_e32 v62, 0xbf737871, v57
	;; [unrolled: 1-line block ×5, first 2 shown]
	v_add_f32_e32 v88, v0, v54
	v_dual_fmac_f32 v93, 0x3f167918, v6 :: v_dual_sub_f32 v6, v7, v89
	v_fmac_f32_e32 v4, 0x3f4f1bbd, v9
	v_fmac_f32_e32 v90, 0x3f167918, v9
	;; [unrolled: 1-line block ×4, first 2 shown]
	s_delay_alu instid0(VALU_DEP_4)
	v_dual_fmac_f32 v91, 0x3f737871, v55 :: v_dual_sub_f32 v0, v2, v4
	v_fmac_f32_e32 v92, 0x3f737871, v49
	v_add_f32_e32 v8, v1, v3
	v_add_f32_e32 v10, v2, v4
	;; [unrolled: 1-line block ×7, first 2 shown]
	v_dual_add_f32 v15, v81, v92 :: v_dual_add_f32 v54, v7, v89
	v_dual_add_f32 v55, v82, v93 :: v_dual_sub_f32 v56, v1, v3
	v_dual_sub_f32 v57, v87, v88 :: v_dual_sub_f32 v2, v61, v62
	v_sub_f32_e32 v1, v58, v90
	v_sub_f32_e32 v3, v59, v91
	v_dual_sub_f32 v4, v60, v63 :: v_dual_sub_f32 v5, v81, v92
	v_sub_f32_e32 v7, v82, v93
	ds_store_2addr_b64 v100, v[8:9], v[10:11] offset1:6
	ds_store_2addr_b64 v100, v[12:13], v[14:15] offset0:12 offset1:18
	ds_store_2addr_b64 v100, v[54:55], v[56:57] offset0:24 offset1:30
	;; [unrolled: 1-line block ×4, first 2 shown]
	v_add_nc_u32_e32 v12, 0xa00, v95
	v_add_nc_u32_e32 v13, 0x1600, v95
	s_waitcnt lgkmcnt(0)
	s_barrier
	buffer_gl0_inv
	ds_load_2addr_b64 v[8:11], v95 offset1:180
	ds_load_2addr_b64 v[54:57], v12 offset0:40 offset1:220
	ds_load_2addr_b64 v[12:15], v13 offset0:16 offset1:196
	s_and_saveexec_b32 s1, vcc_lo
	s_cbranch_execz .LBB0_23
; %bb.22:
	v_add_nc_u32_e32 v0, 0x200, v95
	v_add_nc_u32_e32 v4, 0xe00, v95
	ds_load_2addr_b64 v[0:3], v0 offset0:44 offset1:224
	ds_load_2addr_b64 v[4:7], v4 offset0:20 offset1:200
	;; [unrolled: 1-line block ×3, first 2 shown]
.LBB0_23:
	s_or_b32 exec_lo, exec_lo, s1
	s_waitcnt lgkmcnt(2)
	v_mul_f32_e32 v48, v25, v11
	v_mul_f32_e32 v25, v25, v10
	s_waitcnt lgkmcnt(1)
	v_mul_f32_e32 v49, v27, v55
	v_mul_f32_e32 v27, v27, v54
	s_waitcnt lgkmcnt(0)
	v_fmac_f32_e32 v48, v24, v10
	v_fma_f32 v10, v24, v11, -v25
	v_mul_f32_e32 v11, v33, v57
	v_dual_fmac_f32 v49, v26, v54 :: v_dual_mul_f32 v24, v33, v56
	v_fma_f32 v25, v26, v55, -v27
	v_mul_f32_e32 v26, v35, v13
	v_mul_f32_e32 v27, v35, v12
	v_fmac_f32_e32 v11, v32, v56
	v_fma_f32 v24, v32, v57, -v24
	v_mul_f32_e32 v32, v86, v15
	v_dual_fmac_f32 v26, v34, v12 :: v_dual_mul_f32 v35, v31, v5
	v_fma_f32 v13, v34, v13, -v27
	v_mul_f32_e32 v34, v29, v3
	v_mul_f32_e32 v12, v86, v14
	s_delay_alu instid0(VALU_DEP_4) | instskip(SKIP_1) | instid1(VALU_DEP_4)
	v_dual_fmac_f32 v32, v85, v14 :: v_dual_fmac_f32 v35, v30, v4
	v_mul_f32_e32 v14, v29, v2
	v_dual_fmac_f32 v34, v28, v2 :: v_dual_mul_f32 v55, v21, v7
	v_mul_f32_e32 v2, v31, v4
	v_fma_f32 v12, v85, v15, -v12
	s_barrier
	buffer_gl0_inv
	v_fmac_f32_e32 v55, v20, v6
	v_fma_f32 v4, v30, v5, -v2
	v_mul_f32_e32 v5, v23, v51
	v_fma_f32 v54, v28, v3, -v14
	v_mul_f32_e32 v3, v21, v6
	v_mul_f32_e32 v2, v23, v50
	s_delay_alu instid0(VALU_DEP_4) | instskip(NEXT) | instid1(VALU_DEP_3)
	v_dual_add_f32 v14, v8, v49 :: v_dual_fmac_f32 v5, v22, v50
	v_fma_f32 v6, v20, v7, -v3
	v_mul_f32_e32 v7, v84, v53
	v_mul_f32_e32 v3, v84, v52
	v_fma_f32 v20, v22, v51, -v2
	v_add_f32_e32 v2, v49, v26
	s_delay_alu instid0(VALU_DEP_4) | instskip(NEXT) | instid1(VALU_DEP_4)
	v_dual_add_f32 v22, v14, v26 :: v_dual_fmac_f32 v7, v83, v52
	v_fma_f32 v21, v83, v53, -v3
	s_delay_alu instid0(VALU_DEP_3) | instskip(SKIP_2) | instid1(VALU_DEP_2)
	v_fma_f32 v2, -0.5, v2, v8
	v_sub_f32_e32 v8, v25, v13
	v_add_f32_e32 v3, v25, v13
	v_dual_add_f32 v14, v9, v25 :: v_dual_fmamk_f32 v23, v8, 0xbf5db3d7, v2
	v_fmac_f32_e32 v2, 0x3f5db3d7, v8
	s_delay_alu instid0(VALU_DEP_3) | instskip(SKIP_1) | instid1(VALU_DEP_4)
	v_fma_f32 v3, -0.5, v3, v9
	v_dual_sub_f32 v9, v49, v26 :: v_dual_add_f32 v8, v24, v12
	v_add_f32_e32 v25, v14, v13
	s_delay_alu instid0(VALU_DEP_2) | instskip(NEXT) | instid1(VALU_DEP_3)
	v_dual_add_f32 v14, v10, v24 :: v_dual_fmamk_f32 v31, v9, 0x3f5db3d7, v3
	v_fmac_f32_e32 v10, -0.5, v8
	v_dual_sub_f32 v8, v11, v32 :: v_dual_fmac_f32 v3, 0xbf5db3d7, v9
	s_delay_alu instid0(VALU_DEP_3) | instskip(NEXT) | instid1(VALU_DEP_2)
	v_add_f32_e32 v33, v14, v12
	v_fmamk_f32 v9, v8, 0x3f5db3d7, v10
	v_add_f32_e32 v13, v11, v32
	v_dual_add_f32 v11, v48, v11 :: v_dual_fmac_f32 v10, 0xbf5db3d7, v8
	s_delay_alu instid0(VALU_DEP_2) | instskip(NEXT) | instid1(VALU_DEP_2)
	v_dual_fmac_f32 v48, -0.5, v13 :: v_dual_sub_f32 v13, v24, v12
	v_add_f32_e32 v8, v11, v32
	v_mul_f32_e32 v24, 0xbf5db3d7, v9
	v_mul_f32_e32 v9, 0.5, v9
	s_delay_alu instid0(VALU_DEP_4)
	v_fmamk_f32 v11, v13, 0xbf5db3d7, v48
	v_fmac_f32_e32 v48, 0x3f5db3d7, v13
	v_mul_f32_e32 v29, 0xbf5db3d7, v10
	v_mul_f32_e32 v10, -0.5, v10
	v_add_f32_e32 v12, v22, v8
	v_fmac_f32_e32 v24, 0.5, v11
	v_fmac_f32_e32 v9, 0x3f5db3d7, v11
	v_fmac_f32_e32 v29, -0.5, v48
	v_dual_fmac_f32 v10, 0x3f5db3d7, v48 :: v_dual_add_f32 v13, v25, v33
	s_delay_alu instid0(VALU_DEP_4) | instskip(NEXT) | instid1(VALU_DEP_4)
	v_add_f32_e32 v14, v23, v24
	v_dual_add_f32 v15, v31, v9 :: v_dual_sub_f32 v28, v22, v8
	s_delay_alu instid0(VALU_DEP_3)
	v_dual_add_f32 v26, v2, v29 :: v_dual_add_f32 v27, v3, v10
	v_sub_f32_e32 v32, v2, v29
	v_add_f32_e32 v2, v35, v5
	v_dual_sub_f32 v30, v23, v24 :: v_dual_sub_f32 v29, v25, v33
	v_dual_sub_f32 v31, v31, v9 :: v_dual_add_f32 v8, v0, v35
	v_sub_f32_e32 v33, v3, v10
	s_delay_alu instid0(VALU_DEP_4) | instskip(SKIP_1) | instid1(VALU_DEP_4)
	v_dual_add_f32 v3, v4, v20 :: v_dual_fmac_f32 v0, -0.5, v2
	v_sub_f32_e32 v9, v4, v20
	v_add_f32_e32 v2, v8, v5
	s_delay_alu instid0(VALU_DEP_3) | instskip(NEXT) | instid1(VALU_DEP_3)
	v_dual_add_f32 v4, v1, v4 :: v_dual_fmac_f32 v1, -0.5, v3
	v_dual_sub_f32 v8, v35, v5 :: v_dual_fmamk_f32 v3, v9, 0xbf5db3d7, v0
	v_fmac_f32_e32 v0, 0x3f5db3d7, v9
	s_delay_alu instid0(VALU_DEP_3) | instskip(NEXT) | instid1(VALU_DEP_3)
	v_dual_add_f32 v9, v6, v21 :: v_dual_add_f32 v4, v4, v20
	v_dual_fmamk_f32 v5, v8, 0x3f5db3d7, v1 :: v_dual_add_f32 v10, v55, v7
	v_dual_fmac_f32 v1, 0xbf5db3d7, v8 :: v_dual_add_f32 v20, v54, v6
	s_delay_alu instid0(VALU_DEP_3) | instskip(NEXT) | instid1(VALU_DEP_3)
	v_dual_fmac_f32 v54, -0.5, v9 :: v_dual_add_f32 v11, v34, v55
	v_dual_sub_f32 v9, v55, v7 :: v_dual_fmac_f32 v34, -0.5, v10
	s_delay_alu instid0(VALU_DEP_1) | instskip(SKIP_2) | instid1(VALU_DEP_1)
	v_fmamk_f32 v22, v9, 0x3f5db3d7, v54
	v_sub_f32_e32 v10, v6, v21
	v_fmac_f32_e32 v54, 0xbf5db3d7, v9
	v_dual_add_f32 v6, v11, v7 :: v_dual_mul_f32 v11, -0.5, v54
	s_delay_alu instid0(VALU_DEP_4) | instskip(NEXT) | instid1(VALU_DEP_4)
	v_mul_f32_e32 v7, 0xbf5db3d7, v22
	v_fmamk_f32 v23, v10, 0xbf5db3d7, v34
	v_mul_f32_e32 v9, 0.5, v22
	s_delay_alu instid0(VALU_DEP_2) | instskip(NEXT) | instid1(VALU_DEP_2)
	v_dual_fmac_f32 v7, 0.5, v23 :: v_dual_fmac_f32 v34, 0x3f5db3d7, v10
	v_fmac_f32_e32 v9, 0x3f5db3d7, v23
	v_mul_f32_e32 v8, 0xbf5db3d7, v54
	v_add_f32_e32 v10, v20, v21
	v_sub_f32_e32 v20, v2, v6
	v_fmac_f32_e32 v11, 0x3f5db3d7, v34
	s_delay_alu instid0(VALU_DEP_4) | instskip(NEXT) | instid1(VALU_DEP_4)
	v_dual_sub_f32 v23, v5, v9 :: v_dual_fmac_f32 v8, -0.5, v34
	v_dual_sub_f32 v22, v3, v7 :: v_dual_sub_f32 v21, v4, v10
	s_delay_alu instid0(VALU_DEP_3) | instskip(NEXT) | instid1(VALU_DEP_3)
	v_dual_sub_f32 v25, v1, v11 :: v_dual_add_nc_u32 v34, 0x400, v104
	v_sub_f32_e32 v24, v0, v8
	ds_store_2addr_b64 v104, v[12:13], v[14:15] offset1:60
	ds_store_2addr_b64 v104, v[26:27], v[28:29] offset0:120 offset1:180
	ds_store_2addr_b64 v34, v[30:31], v[32:33] offset0:112 offset1:172
	s_and_saveexec_b32 s1, vcc_lo
	s_cbranch_execz .LBB0_25
; %bb.24:
	v_dual_add_f32 v1, v1, v11 :: v_dual_and_b32 v12, 0xffff, v98
	v_add_f32_e32 v10, v4, v10
	v_add_f32_e32 v4, v3, v7
	;; [unrolled: 1-line block ×3, first 2 shown]
	s_delay_alu instid0(VALU_DEP_4) | instskip(SKIP_1) | instid1(VALU_DEP_2)
	v_mul_u32_u24_e32 v12, 0x168, v12
	v_add_f32_e32 v5, v5, v9
	v_dual_add_f32 v9, v2, v6 :: v_dual_add_nc_u32 v12, v12, v99
	s_delay_alu instid0(VALU_DEP_1) | instskip(NEXT) | instid1(VALU_DEP_1)
	v_lshl_add_u32 v11, v12, 3, v97
	v_add_nc_u32_e32 v2, 0x400, v11
	ds_store_2addr_b64 v11, v[9:10], v[4:5] offset1:60
	ds_store_2addr_b64 v11, v[0:1], v[20:21] offset0:120 offset1:180
	ds_store_2addr_b64 v2, v[22:23], v[24:25] offset0:112 offset1:172
.LBB0_25:
	s_or_b32 exec_lo, exec_lo, s1
	v_add_nc_u32_e32 v28, 0x400, v95
	v_add_nc_u32_e32 v8, 0x1400, v95
	;; [unrolled: 1-line block ×3, first 2 shown]
	s_waitcnt lgkmcnt(0)
	s_barrier
	buffer_gl0_inv
	ds_load_2addr_b64 v[4:7], v95 offset1:108
	ds_load_2addr_b64 v[0:3], v28 offset0:88 offset1:232
	ds_load_2addr_b64 v[12:15], v8 offset0:80 offset1:188
	;; [unrolled: 1-line block ×3, first 2 shown]
	ds_load_b64 v[26:27], v95 offset:7488
	v_add_nc_u32_e32 v29, 0x6c0, v103
	s_and_saveexec_b32 s1, s0
	s_cbranch_execz .LBB0_27
; %bb.26:
	ds_load_b64 v[20:21], v95 offset:2592
	ds_load_b64 v[22:23], v95 offset:5472
	;; [unrolled: 1-line block ×3, first 2 shown]
.LBB0_27:
	s_or_b32 exec_lo, exec_lo, s1
	s_waitcnt lgkmcnt(2)
	v_dual_mul_f32 v30, v45, v3 :: v_dual_mul_f32 v33, v47, v12
	v_dual_mul_f32 v31, v45, v2 :: v_dual_mul_f32 v32, v47, v13
	s_delay_alu instid0(VALU_DEP_2) | instskip(NEXT) | instid1(VALU_DEP_2)
	v_fmac_f32_e32 v30, v44, v2
	v_fma_f32 v3, v44, v3, -v31
	s_waitcnt lgkmcnt(1)
	s_delay_alu instid0(VALU_DEP_3) | instskip(SKIP_2) | instid1(VALU_DEP_3)
	v_dual_mul_f32 v31, v41, v9 :: v_dual_fmac_f32 v32, v46, v12
	v_fma_f32 v12, v46, v13, -v33
	v_dual_mul_f32 v13, v43, v15 :: v_dual_mul_f32 v2, v41, v8
	v_dual_fmac_f32 v31, v40, v8 :: v_dual_mul_f32 v8, v43, v14
	s_delay_alu instid0(VALU_DEP_2) | instskip(NEXT) | instid1(VALU_DEP_3)
	v_fmac_f32_e32 v13, v42, v14
	v_fma_f32 v33, v40, v9, -v2
	v_mul_f32_e32 v2, v37, v10
	s_delay_alu instid0(VALU_DEP_4)
	v_fma_f32 v14, v42, v15, -v8
	s_waitcnt lgkmcnt(0)
	v_mul_f32_e32 v15, v39, v27
	v_mul_f32_e32 v8, v39, v26
	;; [unrolled: 1-line block ×3, first 2 shown]
	v_fma_f32 v35, v36, v11, -v2
	v_dual_add_f32 v2, v30, v32 :: v_dual_add_f32 v9, v4, v30
	v_sub_f32_e32 v11, v30, v32
	v_fma_f32 v27, v38, v27, -v8
	v_dual_add_f32 v8, v3, v12 :: v_dual_fmac_f32 v15, v38, v26
	v_fmac_f32_e32 v34, v36, v10
	v_fma_f32 v2, -0.5, v2, v4
	v_sub_f32_e32 v10, v3, v12
	v_add_f32_e32 v4, v9, v32
	v_add_f32_e32 v9, v5, v3
	v_fma_f32 v3, -0.5, v8, v5
	v_add_f32_e32 v30, v7, v33
	v_add_f32_e32 v32, v1, v35
	s_delay_alu instid0(VALU_DEP_4) | instskip(NEXT) | instid1(VALU_DEP_4)
	v_add_f32_e32 v5, v9, v12
	v_fmamk_f32 v9, v11, 0x3f5db3d7, v3
	v_fmac_f32_e32 v3, 0xbf5db3d7, v11
	v_dual_add_f32 v11, v33, v14 :: v_dual_fmamk_f32 v8, v10, 0xbf5db3d7, v2
	v_fmac_f32_e32 v2, 0x3f5db3d7, v10
	s_delay_alu instid0(VALU_DEP_2) | instskip(SKIP_1) | instid1(VALU_DEP_2)
	v_dual_add_f32 v10, v31, v13 :: v_dual_fmac_f32 v7, -0.5, v11
	v_dual_add_f32 v12, v6, v31 :: v_dual_sub_f32 v31, v31, v13
	v_fma_f32 v6, -0.5, v10, v6
	v_sub_f32_e32 v26, v33, v14
	s_delay_alu instid0(VALU_DEP_3) | instskip(SKIP_2) | instid1(VALU_DEP_4)
	v_dual_add_f32 v11, v30, v14 :: v_dual_add_f32 v10, v12, v13
	v_add_f32_e32 v30, v35, v27
	v_dual_add_f32 v14, v34, v15 :: v_dual_fmamk_f32 v13, v31, 0x3f5db3d7, v7
	v_dual_fmac_f32 v7, 0xbf5db3d7, v31 :: v_dual_fmamk_f32 v12, v26, 0xbf5db3d7, v6
	v_dual_sub_f32 v31, v35, v27 :: v_dual_fmac_f32 v6, 0x3f5db3d7, v26
	s_delay_alu instid0(VALU_DEP_4) | instskip(SKIP_2) | instid1(VALU_DEP_2)
	v_dual_fmac_f32 v1, -0.5, v30 :: v_dual_sub_f32 v30, v34, v15
	v_add_f32_e32 v26, v0, v34
	v_fma_f32 v0, -0.5, v14, v0
	v_add_f32_e32 v14, v26, v15
	s_delay_alu instid0(VALU_DEP_2)
	v_fmamk_f32 v26, v31, 0xbf5db3d7, v0
	v_fmac_f32_e32 v0, 0x3f5db3d7, v31
	v_add_nc_u32_e32 v31, 0xea0, v95
	v_add_f32_e32 v15, v32, v27
	v_fmamk_f32 v27, v30, 0x3f5db3d7, v1
	v_fmac_f32_e32 v1, 0xbf5db3d7, v30
	ds_store_2addr_b64 v95, v[4:5], v[10:11] offset1:108
	ds_store_2addr_b64 v31, v[12:13], v[2:3] offset1:252
	ds_store_2addr_b64 v28, v[14:15], v[8:9] offset0:88 offset1:232
	ds_store_b64 v95, v[6:7] offset:6624
	ds_store_b64 v29, v[26:27] offset:2880
	;; [unrolled: 1-line block ×3, first 2 shown]
	s_and_saveexec_b32 s1, s0
	s_cbranch_execz .LBB0_29
; %bb.28:
	v_dual_mul_f32 v0, v17, v22 :: v_dual_mul_f32 v1, v19, v24
	s_delay_alu instid0(VALU_DEP_1) | instskip(NEXT) | instid1(VALU_DEP_2)
	v_fma_f32 v0, v16, v23, -v0
	v_fma_f32 v3, v18, v25, -v1
	s_delay_alu instid0(VALU_DEP_2) | instskip(NEXT) | instid1(VALU_DEP_1)
	v_dual_mul_f32 v4, v19, v25 :: v_dual_add_f32 v7, v21, v0
	v_dual_add_f32 v1, v0, v3 :: v_dual_fmac_f32 v4, v18, v24
	s_delay_alu instid0(VALU_DEP_1) | instskip(SKIP_2) | instid1(VALU_DEP_2)
	v_fma_f32 v1, -0.5, v1, v21
	v_mul_f32_e32 v2, v17, v23
	v_sub_f32_e32 v8, v0, v3
	v_dual_add_f32 v3, v7, v3 :: v_dual_fmac_f32 v2, v16, v22
	s_delay_alu instid0(VALU_DEP_1) | instskip(SKIP_2) | instid1(VALU_DEP_3)
	v_add_f32_e32 v5, v2, v4
	v_sub_f32_e32 v6, v2, v4
	v_add_f32_e32 v2, v20, v2
	v_fma_f32 v0, -0.5, v5, v20
	s_delay_alu instid0(VALU_DEP_3) | instskip(NEXT) | instid1(VALU_DEP_3)
	v_fmamk_f32 v5, v6, 0xbf5db3d7, v1
	v_dual_add_f32 v2, v2, v4 :: v_dual_fmac_f32 v1, 0x3f5db3d7, v6
	s_delay_alu instid0(VALU_DEP_3)
	v_fmamk_f32 v4, v8, 0x3f5db3d7, v0
	v_fmac_f32_e32 v0, 0xbf5db3d7, v8
	ds_store_b64 v95, v[2:3] offset:2592
	ds_store_b64 v95, v[0:1] offset:5472
	;; [unrolled: 1-line block ×3, first 2 shown]
.LBB0_29:
	s_or_b32 exec_lo, exec_lo, s1
	s_waitcnt lgkmcnt(0)
	s_barrier
	buffer_gl0_inv
	ds_load_2addr_b64 v[0:3], v95 offset1:180
	v_add_nc_u32_e32 v4, 0xa00, v95
	v_add_nc_u32_e32 v8, 0x1600, v95
	v_mad_u64_u32 v[24:25], null, s6, v68, 0
	v_mad_u64_u32 v[26:27], null, s4, v96, 0
	s_mov_b32 s2, 0xc901e574
	s_mov_b32 s3, 0x3f4e573a
	s_mul_i32 s1, s5, 0xb4
	s_mul_i32 s6, s4, 0xb4
	s_delay_alu instid0(VALU_DEP_1) | instskip(SKIP_1) | instid1(SALU_CYCLE_1)
	v_mad_u64_u32 v[28:29], null, s7, v68, v[25:26]
	s_mul_hi_u32 s7, s4, 0xb4
	s_add_i32 s7, s7, s1
	s_delay_alu instid0(SALU_CYCLE_1)
	s_lshl_b64 s[6:7], s[6:7], 3
	s_waitcnt lgkmcnt(0)
	v_mul_f32_e32 v15, v74, v2
	v_mul_f32_e32 v13, v72, v0
	ds_load_2addr_b64 v[4:7], v4 offset0:40 offset1:220
	ds_load_2addr_b64 v[8:11], v8 offset0:16 offset1:196
	v_mad_u64_u32 v[29:30], null, s5, v96, v[27:28]
	v_mul_f32_e32 v12, v72, v1
	v_mul_f32_e32 v14, v74, v3
	v_fma_f32 v13, v71, v1, -v13
	v_fma_f32 v15, v73, v3, -v15
	v_mov_b32_e32 v25, v28
	v_mov_b32_e32 v27, v29
	s_delay_alu instid0(VALU_DEP_2) | instskip(NEXT) | instid1(VALU_DEP_2)
	v_lshlrev_b64 v[24:25], 3, v[24:25]
	v_lshlrev_b64 v[26:27], 3, v[26:27]
	s_waitcnt lgkmcnt(1)
	v_dual_mul_f32 v19, v76, v6 :: v_dual_mul_f32 v16, v70, v5
	v_dual_mul_f32 v17, v70, v4 :: v_dual_mul_f32 v18, v76, v7
	s_waitcnt lgkmcnt(0)
	v_dual_fmac_f32 v14, v73, v2 :: v_dual_mul_f32 v21, v78, v8
	v_mul_f32_e32 v20, v78, v9
	v_fmac_f32_e32 v16, v69, v4
	v_fma_f32 v17, v69, v5, -v17
	v_fmac_f32_e32 v18, v75, v6
	v_dual_fmac_f32 v12, v71, v0 :: v_dual_mul_f32 v23, v80, v10
	v_mul_f32_e32 v22, v80, v11
	v_fma_f32 v19, v75, v7, -v19
	v_fmac_f32_e32 v20, v77, v8
	v_cvt_f64_f32_e32 v[4:5], v16
	v_cvt_f64_f32_e32 v[6:7], v17
	;; [unrolled: 1-line block ×3, first 2 shown]
	v_fma_f32 v18, v77, v9, -v21
	v_cvt_f64_f32_e32 v[0:1], v12
	v_cvt_f64_f32_e32 v[2:3], v13
	v_fmac_f32_e32 v22, v79, v10
	v_fma_f32 v23, v79, v11, -v23
	v_cvt_f64_f32_e32 v[12:13], v14
	v_cvt_f64_f32_e32 v[14:15], v15
	;; [unrolled: 1-line block ×7, first 2 shown]
	v_mul_f64 v[4:5], v[4:5], s[2:3]
	v_mul_f64 v[6:7], v[6:7], s[2:3]
	;; [unrolled: 1-line block ×12, first 2 shown]
	v_cvt_f32_f64_e32 v4, v[4:5]
	v_cvt_f32_f64_e32 v5, v[6:7]
	;; [unrolled: 1-line block ×5, first 2 shown]
	v_add_co_u32 v0, s0, s10, v24
	v_cvt_f32_f64_e32 v2, v[12:13]
	v_cvt_f32_f64_e32 v3, v[14:15]
	;; [unrolled: 1-line block ×3, first 2 shown]
	v_add_co_ci_u32_e64 v1, s0, s11, v25, s0
	v_cvt_f32_f64_e32 v8, v[10:11]
	v_cvt_f32_f64_e32 v9, v[18:19]
	;; [unrolled: 1-line block ×4, first 2 shown]
	v_add_co_u32 v12, s0, v0, v26
	s_delay_alu instid0(VALU_DEP_1) | instskip(NEXT) | instid1(VALU_DEP_2)
	v_add_co_ci_u32_e64 v13, s0, v1, v27, s0
	v_add_co_u32 v14, s0, v12, s6
	s_delay_alu instid0(VALU_DEP_1) | instskip(NEXT) | instid1(VALU_DEP_2)
	v_add_co_ci_u32_e64 v15, s0, s7, v13, s0
	;; [unrolled: 3-line block ×5, first 2 shown]
	v_add_co_u32 v0, s0, v20, s6
	s_delay_alu instid0(VALU_DEP_1)
	v_add_co_ci_u32_e64 v1, s0, s7, v21, s0
	s_clause 0x4
	global_store_b64 v[12:13], v[28:29], off
	global_store_b64 v[14:15], v[2:3], off
	;; [unrolled: 1-line block ×6, first 2 shown]
	s_and_b32 exec_lo, exec_lo, vcc_lo
	s_cbranch_execz .LBB0_31
; %bb.30:
	s_clause 0x5
	global_load_b64 v[14:15], v[66:67], off offset:864
	global_load_b64 v[16:17], v[66:67], off offset:2304
	;; [unrolled: 1-line block ×6, first 2 shown]
	v_add_nc_u32_e32 v2, 0x200, v95
	v_add_nc_u32_e32 v10, 0x1800, v95
	s_mul_i32 s0, s5, 0xffffe740
	s_delay_alu instid0(SALU_CYCLE_1)
	s_sub_i32 s0, s0, s4
	ds_load_2addr_b64 v[2:5], v2 offset0:44 offset1:224
	s_waitcnt vmcnt(4) lgkmcnt(0)
	v_dual_mul_f32 v27, v5, v17 :: v_dual_add_nc_u32 v6, 0xe00, v95
	v_mul_f32_e32 v17, v4, v17
	ds_load_2addr_b64 v[6:9], v6 offset0:20 offset1:200
	ds_load_2addr_b64 v[10:13], v10 offset0:60 offset1:240
	v_mul_f32_e32 v26, v3, v15
	v_mul_f32_e32 v15, v2, v15
	s_waitcnt vmcnt(3) lgkmcnt(1)
	v_dual_fmac_f32 v27, v4, v16 :: v_dual_mul_f32 v28, v7, v19
	s_waitcnt vmcnt(0) lgkmcnt(0)
	v_mul_f32_e32 v31, v13, v25
	v_mul_f32_e32 v19, v6, v19
	;; [unrolled: 1-line block ×3, first 2 shown]
	v_dual_mul_f32 v21, v8, v21 :: v_dual_mul_f32 v30, v11, v23
	v_mul_f32_e32 v25, v12, v25
	v_mul_f32_e32 v23, v10, v23
	v_fmac_f32_e32 v26, v2, v14
	v_fma_f32 v14, v14, v3, -v15
	v_fma_f32 v15, v16, v5, -v17
	v_dual_fmac_f32 v28, v6, v18 :: v_dual_fmac_f32 v29, v8, v20
	v_fma_f32 v16, v18, v7, -v19
	v_fma_f32 v17, v20, v9, -v21
	v_dual_fmac_f32 v30, v10, v22 :: v_dual_fmac_f32 v31, v12, v24
	v_fma_f32 v20, v22, v11, -v23
	v_fma_f32 v24, v24, v13, -v25
	v_cvt_f64_f32_e32 v[2:3], v26
	v_cvt_f64_f32_e32 v[4:5], v14
	;; [unrolled: 1-line block ×12, first 2 shown]
	v_mad_u64_u32 v[26:27], null, 0xffffe740, s4, v[0:1]
	s_delay_alu instid0(VALU_DEP_1)
	v_add_nc_u32_e32 v27, s0, v27
	v_mul_f64 v[2:3], v[2:3], s[2:3]
	v_mul_f64 v[4:5], v[4:5], s[2:3]
	v_mul_f64 v[6:7], v[6:7], s[2:3]
	v_mul_f64 v[8:9], v[8:9], s[2:3]
	v_mul_f64 v[10:11], v[10:11], s[2:3]
	v_mul_f64 v[12:13], v[12:13], s[2:3]
	v_mul_f64 v[14:15], v[14:15], s[2:3]
	v_mul_f64 v[16:17], v[16:17], s[2:3]
	v_mul_f64 v[18:19], v[18:19], s[2:3]
	v_mul_f64 v[20:21], v[20:21], s[2:3]
	v_mul_f64 v[22:23], v[22:23], s[2:3]
	v_mul_f64 v[24:25], v[24:25], s[2:3]
	v_cvt_f32_f64_e32 v0, v[2:3]
	v_cvt_f32_f64_e32 v1, v[4:5]
	;; [unrolled: 1-line block ×12, first 2 shown]
	v_add_co_u32 v12, vcc_lo, v26, s6
	v_add_co_ci_u32_e32 v13, vcc_lo, s7, v27, vcc_lo
	s_delay_alu instid0(VALU_DEP_2) | instskip(NEXT) | instid1(VALU_DEP_2)
	v_add_co_u32 v14, vcc_lo, v12, s6
	v_add_co_ci_u32_e32 v15, vcc_lo, s7, v13, vcc_lo
	s_delay_alu instid0(VALU_DEP_2) | instskip(NEXT) | instid1(VALU_DEP_2)
	;; [unrolled: 3-line block ×4, first 2 shown]
	v_add_co_u32 v20, vcc_lo, v18, s6
	v_add_co_ci_u32_e32 v21, vcc_lo, s7, v19, vcc_lo
	global_store_b64 v[26:27], v[0:1], off
	global_store_b64 v[12:13], v[2:3], off
	;; [unrolled: 1-line block ×6, first 2 shown]
.LBB0_31:
	s_nop 0
	s_sendmsg sendmsg(MSG_DEALLOC_VGPRS)
	s_endpgm
	.section	.rodata,"a",@progbits
	.p2align	6, 0x0
	.amdhsa_kernel bluestein_single_fwd_len1080_dim1_sp_op_CI_CI
		.amdhsa_group_segment_fixed_size 17280
		.amdhsa_private_segment_fixed_size 0
		.amdhsa_kernarg_size 104
		.amdhsa_user_sgpr_count 15
		.amdhsa_user_sgpr_dispatch_ptr 0
		.amdhsa_user_sgpr_queue_ptr 0
		.amdhsa_user_sgpr_kernarg_segment_ptr 1
		.amdhsa_user_sgpr_dispatch_id 0
		.amdhsa_user_sgpr_private_segment_size 0
		.amdhsa_wavefront_size32 1
		.amdhsa_uses_dynamic_stack 0
		.amdhsa_enable_private_segment 0
		.amdhsa_system_sgpr_workgroup_id_x 1
		.amdhsa_system_sgpr_workgroup_id_y 0
		.amdhsa_system_sgpr_workgroup_id_z 0
		.amdhsa_system_sgpr_workgroup_info 0
		.amdhsa_system_vgpr_workitem_id 0
		.amdhsa_next_free_vgpr 128
		.amdhsa_next_free_sgpr 20
		.amdhsa_reserve_vcc 1
		.amdhsa_float_round_mode_32 0
		.amdhsa_float_round_mode_16_64 0
		.amdhsa_float_denorm_mode_32 3
		.amdhsa_float_denorm_mode_16_64 3
		.amdhsa_dx10_clamp 1
		.amdhsa_ieee_mode 1
		.amdhsa_fp16_overflow 0
		.amdhsa_workgroup_processor_mode 1
		.amdhsa_memory_ordered 1
		.amdhsa_forward_progress 0
		.amdhsa_shared_vgpr_count 0
		.amdhsa_exception_fp_ieee_invalid_op 0
		.amdhsa_exception_fp_denorm_src 0
		.amdhsa_exception_fp_ieee_div_zero 0
		.amdhsa_exception_fp_ieee_overflow 0
		.amdhsa_exception_fp_ieee_underflow 0
		.amdhsa_exception_fp_ieee_inexact 0
		.amdhsa_exception_int_div_zero 0
	.end_amdhsa_kernel
	.text
.Lfunc_end0:
	.size	bluestein_single_fwd_len1080_dim1_sp_op_CI_CI, .Lfunc_end0-bluestein_single_fwd_len1080_dim1_sp_op_CI_CI
                                        ; -- End function
	.section	.AMDGPU.csdata,"",@progbits
; Kernel info:
; codeLenInByte = 11092
; NumSgprs: 22
; NumVgprs: 128
; ScratchSize: 0
; MemoryBound: 0
; FloatMode: 240
; IeeeMode: 1
; LDSByteSize: 17280 bytes/workgroup (compile time only)
; SGPRBlocks: 2
; VGPRBlocks: 15
; NumSGPRsForWavesPerEU: 22
; NumVGPRsForWavesPerEU: 128
; Occupancy: 10
; WaveLimiterHint : 1
; COMPUTE_PGM_RSRC2:SCRATCH_EN: 0
; COMPUTE_PGM_RSRC2:USER_SGPR: 15
; COMPUTE_PGM_RSRC2:TRAP_HANDLER: 0
; COMPUTE_PGM_RSRC2:TGID_X_EN: 1
; COMPUTE_PGM_RSRC2:TGID_Y_EN: 0
; COMPUTE_PGM_RSRC2:TGID_Z_EN: 0
; COMPUTE_PGM_RSRC2:TIDIG_COMP_CNT: 0
	.text
	.p2alignl 7, 3214868480
	.fill 96, 4, 3214868480
	.type	__hip_cuid_edd86442989b6a61,@object ; @__hip_cuid_edd86442989b6a61
	.section	.bss,"aw",@nobits
	.globl	__hip_cuid_edd86442989b6a61
__hip_cuid_edd86442989b6a61:
	.byte	0                               ; 0x0
	.size	__hip_cuid_edd86442989b6a61, 1

	.ident	"AMD clang version 19.0.0git (https://github.com/RadeonOpenCompute/llvm-project roc-6.4.0 25133 c7fe45cf4b819c5991fe208aaa96edf142730f1d)"
	.section	".note.GNU-stack","",@progbits
	.addrsig
	.addrsig_sym __hip_cuid_edd86442989b6a61
	.amdgpu_metadata
---
amdhsa.kernels:
  - .args:
      - .actual_access:  read_only
        .address_space:  global
        .offset:         0
        .size:           8
        .value_kind:     global_buffer
      - .actual_access:  read_only
        .address_space:  global
        .offset:         8
        .size:           8
        .value_kind:     global_buffer
      - .actual_access:  read_only
        .address_space:  global
        .offset:         16
        .size:           8
        .value_kind:     global_buffer
      - .actual_access:  read_only
        .address_space:  global
        .offset:         24
        .size:           8
        .value_kind:     global_buffer
      - .actual_access:  read_only
        .address_space:  global
        .offset:         32
        .size:           8
        .value_kind:     global_buffer
      - .offset:         40
        .size:           8
        .value_kind:     by_value
      - .address_space:  global
        .offset:         48
        .size:           8
        .value_kind:     global_buffer
      - .address_space:  global
        .offset:         56
        .size:           8
        .value_kind:     global_buffer
      - .address_space:  global
        .offset:         64
        .size:           8
        .value_kind:     global_buffer
      - .address_space:  global
        .offset:         72
        .size:           8
        .value_kind:     global_buffer
      - .offset:         80
        .size:           4
        .value_kind:     by_value
      - .address_space:  global
        .offset:         88
        .size:           8
        .value_kind:     global_buffer
      - .address_space:  global
        .offset:         96
        .size:           8
        .value_kind:     global_buffer
    .group_segment_fixed_size: 17280
    .kernarg_segment_align: 8
    .kernarg_segment_size: 104
    .language:       OpenCL C
    .language_version:
      - 2
      - 0
    .max_flat_workgroup_size: 216
    .name:           bluestein_single_fwd_len1080_dim1_sp_op_CI_CI
    .private_segment_fixed_size: 0
    .sgpr_count:     22
    .sgpr_spill_count: 0
    .symbol:         bluestein_single_fwd_len1080_dim1_sp_op_CI_CI.kd
    .uniform_work_group_size: 1
    .uses_dynamic_stack: false
    .vgpr_count:     128
    .vgpr_spill_count: 0
    .wavefront_size: 32
    .workgroup_processor_mode: 1
amdhsa.target:   amdgcn-amd-amdhsa--gfx1100
amdhsa.version:
  - 1
  - 2
...

	.end_amdgpu_metadata
